;; amdgpu-corpus repo=pytorch/pytorch kind=compiled arch=gfx90a opt=O3
	.text
	.amdgcn_target "amdgcn-amd-amdhsa--gfx90a"
	.amdhsa_code_object_version 6
	.section	.text._ZN2at6native12_GLOBAL__N_125multi_tensor_apply_kernelINS1_32FusedOptimizerTensorListMetadataILi4EEENS1_22FusedAdamMathFunctorMPIfffN3c108BFloat16ES7_fLi4ELNS0_9ADAM_MODEE0ELb0EEEJPKfdddddbSB_SB_EEEvT_T0_DpT1_,"axG",@progbits,_ZN2at6native12_GLOBAL__N_125multi_tensor_apply_kernelINS1_32FusedOptimizerTensorListMetadataILi4EEENS1_22FusedAdamMathFunctorMPIfffN3c108BFloat16ES7_fLi4ELNS0_9ADAM_MODEE0ELb0EEEJPKfdddddbSB_SB_EEEvT_T0_DpT1_,comdat
	.globl	_ZN2at6native12_GLOBAL__N_125multi_tensor_apply_kernelINS1_32FusedOptimizerTensorListMetadataILi4EEENS1_22FusedAdamMathFunctorMPIfffN3c108BFloat16ES7_fLi4ELNS0_9ADAM_MODEE0ELb0EEEJPKfdddddbSB_SB_EEEvT_T0_DpT1_ ; -- Begin function _ZN2at6native12_GLOBAL__N_125multi_tensor_apply_kernelINS1_32FusedOptimizerTensorListMetadataILi4EEENS1_22FusedAdamMathFunctorMPIfffN3c108BFloat16ES7_fLi4ELNS0_9ADAM_MODEE0ELb0EEEJPKfdddddbSB_SB_EEEvT_T0_DpT1_
	.p2align	8
	.type	_ZN2at6native12_GLOBAL__N_125multi_tensor_apply_kernelINS1_32FusedOptimizerTensorListMetadataILi4EEENS1_22FusedAdamMathFunctorMPIfffN3c108BFloat16ES7_fLi4ELNS0_9ADAM_MODEE0ELb0EEEJPKfdddddbSB_SB_EEEvT_T0_DpT1_,@function
_ZN2at6native12_GLOBAL__N_125multi_tensor_apply_kernelINS1_32FusedOptimizerTensorListMetadataILi4EEENS1_22FusedAdamMathFunctorMPIfffN3c108BFloat16ES7_fLi4ELNS0_9ADAM_MODEE0ELb0EEEJPKfdddddbSB_SB_EEEvT_T0_DpT1_: ; @_ZN2at6native12_GLOBAL__N_125multi_tensor_apply_kernelINS1_32FusedOptimizerTensorListMetadataILi4EEENS1_22FusedAdamMathFunctorMPIfffN3c108BFloat16ES7_fLi4ELNS0_9ADAM_MODEE0ELb0EEEJPKfdddddbSB_SB_EEEvT_T0_DpT1_
; %bb.0:
	v_mov_b32_e32 v1, s6
	global_load_ubyte v1, v1, s[4:5] offset:1728
	s_load_dwordx4 s[8:11], s[4:5], 0xd30
	s_load_dwordx8 s[12:19], s[4:5], 0xd10
	s_add_u32 s0, s4, s6
	s_mul_hi_u32 s1, s6, 3
	s_mul_i32 s6, s6, 3
	s_addc_u32 s2, s5, 0
	s_add_u32 s0, s0, s6
	s_addc_u32 s1, s2, s1
	s_waitcnt lgkmcnt(0)
	s_cmp_eq_u64 s[12:13], 0
	s_mov_b64 s[2:3], 0
	s_waitcnt vmcnt(0)
	v_readfirstlane_b32 s6, v1
	s_cbranch_scc1 .LBB0_68
; %bb.1:
	s_load_dword s7, s[12:13], 0x0
	s_andn2_b64 vcc, exec, s[2:3]
	s_waitcnt lgkmcnt(0)
	v_mov_b32_e32 v38, s7
	s_cbranch_vccnz .LBB0_3
.LBB0_2:
	v_cvt_f32_f64_e32 v38, s[14:15]
.LBB0_3:
	s_load_dwordx4 s[20:23], s[4:5], 0xd48
	s_waitcnt lgkmcnt(0)
	s_cmp_eq_u64 s[22:23], 0
	s_cselect_b64 s[2:3], -1, 0
	s_and_b64 vcc, exec, s[2:3]
	s_cbranch_vccnz .LBB0_5
; %bb.4:
	s_load_dword s2, s[22:23], 0x0
	s_waitcnt lgkmcnt(0)
	v_cmp_neq_f32_e64 s[2:3], s2, 1.0
.LBB0_5:
	s_andn2_b64 vcc, exec, s[2:3]
	s_cbranch_vccnz .LBB0_84
; %bb.6:
                                        ; implicit-def: $vgpr76 : SGPR spill to VGPR lane
	s_and_b32 s3, s6, 0xff
	v_writelane_b32 v76, s8, 0
	v_writelane_b32 v76, s9, 1
	;; [unrolled: 1-line block ×3, first 2 shown]
	s_load_dword s2, s[0:1], 0x800
	s_lshl_b32 s1, s3, 3
	v_writelane_b32 v76, s11, 3
	s_load_dwordx2 s[6:7], s[4:5], s1 offset:0x5a0
	s_load_dwordx2 s[8:9], s[4:5], s1 offset:0x480
	s_mov_b32 s36, 0
	s_waitcnt lgkmcnt(0)
	s_ashr_i32 s3, s2, 31
	s_lshl_b64 s[30:31], s[2:3], 16
	s_lshl_b64 s[22:23], s[2:3], 18
	v_writelane_b32 v76, s8, 4
	v_writelane_b32 v76, s9, 5
	s_load_dword s0, s[6:7], 0x0
	s_load_dwordx2 s[8:9], s[4:5], s1 offset:0x0
	s_nop 0
	s_load_dwordx2 s[6:7], s[4:5], s1 offset:0x120
	s_load_dwordx2 s[10:11], s[4:5], s1 offset:0x240
	s_load_dwordx2 s[12:13], s[4:5], s1 offset:0x360
	s_waitcnt lgkmcnt(0)
	s_add_u32 s33, s8, s22
	v_writelane_b32 v76, s8, 6
	s_addc_u32 s44, s9, s23
	v_writelane_b32 v76, s9, 7
	s_add_u32 s45, s6, s22
	v_writelane_b32 v76, s6, 8
	s_addc_u32 s46, s7, s23
	s_lshl_b64 s[28:29], s[2:3], 17
	v_writelane_b32 v76, s7, 9
	s_add_u32 s47, s10, s28
	v_writelane_b32 v76, s10, 10
	s_addc_u32 s48, s11, s29
	v_writelane_b32 v76, s11, 11
	s_add_u32 s49, s12, s28
	v_writelane_b32 v76, s12, 12
	s_addc_u32 s52, s13, s29
	s_and_b32 s2, s33, 15
	s_mov_b32 s3, s36
	s_cmp_lg_u64 s[2:3], 0
	s_mov_b64 s[2:3], 0
	v_writelane_b32 v76, s13, 13
	s_cbranch_scc1 .LBB0_8
; %bb.7:
	s_and_b32 s2, s45, 15
	s_mov_b32 s3, s36
	s_and_b32 s6, s47, 7
	s_mov_b32 s7, s36
	s_or_b64 s[2:3], s[2:3], s[6:7]
	s_and_b32 s6, s49, 7
	s_or_b64 s[2:3], s[2:3], s[6:7]
	s_cmp_eq_u64 s[2:3], 0
	s_cselect_b64 s[2:3], -1, 0
.LBB0_8:
	v_cvt_f64_f32_e32 v[2:3], s0
	v_cmp_eq_f64_e64 s[64:65], s[16:17], 1.0
	v_readfirstlane_b32 s38, v3
	s_and_b64 s[0:1], s[64:65], exec
	v_readfirstlane_b32 s53, v2
	s_cselect_b32 s43, 0x3ff00000, s38
	s_cselect_b32 s42, 0, s53
	v_writelane_b32 v76, s2, 14
	v_cmp_eq_f64_e64 s[0:1], s[42:43], 0
	v_writelane_b32 v76, s3, 15
	s_and_b64 s[2:3], s[0:1], exec
	s_cselect_b32 s35, 0x3ff00000, s17
	s_cselect_b32 s34, 0, s16
	s_and_b32 s2, s17, 0x7fffffff
	s_and_b64 s[0:1], s[0:1], exec
	s_cselect_b32 s59, 0x3ff00000, s2
	s_cselect_b32 s58, 0, s16
	s_mov_b32 s2, 0x55555555
	v_frexp_mant_f64_e32 v[2:3], s[58:59]
	s_mov_b32 s3, 0x3fe55555
	v_cmp_gt_f64_e32 vcc, s[2:3], v[2:3]
	s_and_b64 s[0:1], vcc, exec
	s_cselect_b32 s37, 2.0, 0x3ff00000
	v_mul_f64 v[2:3], v[2:3], s[36:37]
	v_add_f64 v[4:5], v[2:3], 1.0
	v_rcp_f64_e32 v[6:7], v[4:5]
	v_add_f64 v[10:11], v[4:5], -1.0
	v_add_f64 v[8:9], v[2:3], -1.0
	v_add_f64 v[2:3], v[2:3], -v[10:11]
	v_fma_f64 v[10:11], -v[4:5], v[6:7], 1.0
	v_fmac_f64_e32 v[6:7], v[10:11], v[6:7]
	v_fma_f64 v[10:11], -v[4:5], v[6:7], 1.0
	v_fmac_f64_e32 v[6:7], v[10:11], v[6:7]
	v_mul_f64 v[10:11], v[8:9], v[6:7]
	v_mul_f64 v[12:13], v[4:5], v[10:11]
	v_fma_f64 v[4:5], v[10:11], v[4:5], -v[12:13]
	v_fmac_f64_e32 v[4:5], v[10:11], v[2:3]
	v_add_f64 v[2:3], v[12:13], v[4:5]
	v_add_f64 v[14:15], v[8:9], -v[2:3]
	v_add_f64 v[12:13], v[2:3], -v[12:13]
	;; [unrolled: 1-line block ×5, first 2 shown]
	v_add_f64 v[2:3], v[4:5], v[2:3]
	v_add_f64 v[2:3], v[14:15], v[2:3]
	v_mul_f64 v[2:3], v[6:7], v[2:3]
	v_add_f64 v[4:5], v[10:11], v[2:3]
	v_add_f64 v[6:7], v[4:5], -v[10:11]
	v_add_f64 v[6:7], v[2:3], -v[6:7]
	v_mul_f64 v[2:3], v[4:5], v[4:5]
	v_frexp_exp_i32_f64_e32 v1, s[58:59]
	v_fma_f64 v[8:9], v[4:5], v[4:5], -v[2:3]
	v_add_f64 v[10:11], v[6:7], v[6:7]
	v_subbrev_co_u32_e64 v1, s[0:1], 0, v1, vcc
	v_fmac_f64_e32 v[8:9], v[4:5], v[10:11]
	v_add_f64 v[10:11], v[2:3], v[8:9]
	s_mov_b32 s0, 0x968915a9
	v_add_f64 v[2:3], v[10:11], -v[2:3]
	s_mov_b32 s1, 0x3fba6564
	s_mov_b32 s6, 0x4222de17
	v_add_f64 v[8:9], v[8:9], -v[2:3]
	s_mov_b32 s7, 0x3fbdee67
	v_pk_mov_b32 v[2:3], s[0:1], s[0:1] op_sel:[0,1]
	s_mov_b32 s40, 0x3abe935a
	v_fma_f64 v[12:13], s[6:7], v[10:11], v[2:3]
	s_mov_b32 s41, 0x3fbe25e4
	s_mov_b32 s10, 0x47e6c9c2
	;; [unrolled: 1-line block ×3, first 2 shown]
	v_fma_f64 v[12:13], v[10:11], v[12:13], s[40:41]
	s_mov_b32 s11, 0x3fc110ef
	s_mov_b32 s12, 0xcfa74449
	v_cvt_f64_i32_e32 v[14:15], v1
	s_mov_b32 s63, 0x3fe62e42
	v_fma_f64 v[12:13], v[10:11], v[12:13], s[10:11]
	s_mov_b32 s13, 0x3fc3b13b
	s_mov_b32 s14, 0x71bf3c30
	v_mul_f64 v[16:17], v[14:15], s[62:63]
	s_mov_b32 s66, 0x3b39803f
	v_fma_f64 v[12:13], v[10:11], v[12:13], s[12:13]
	s_mov_b32 s15, 0x3fc745d1
	s_mov_b32 s54, 0x1c7792ce
	v_fma_f64 v[18:19], v[14:15], s[62:63], -v[16:17]
	s_mov_b32 s67, 0x3c7abc9e
	v_mul_f64 v[22:23], v[4:5], v[10:11]
	v_fma_f64 v[12:13], v[10:11], v[12:13], s[14:15]
	s_mov_b32 s55, 0x3fcc71c7
	s_mov_b32 s56, 0x924920da
	v_fmac_f64_e32 v[18:19], s[66:67], v[14:15]
	v_fma_f64 v[24:25], v[10:11], v[4:5], -v[22:23]
	v_fma_f64 v[12:13], v[10:11], v[12:13], s[54:55]
	s_mov_b32 s57, 0x3fd24924
	s_mov_b32 s60, 0x9999999c
	v_add_f64 v[14:15], v[16:17], v[18:19]
	v_fmac_f64_e32 v[24:25], v[10:11], v[6:7]
	v_fma_f64 v[12:13], v[10:11], v[12:13], s[56:57]
	s_mov_b32 s61, 0x3fd99999
	v_add_f64 v[16:17], v[14:15], -v[16:17]
	v_fmac_f64_e32 v[24:25], v[8:9], v[4:5]
	v_fma_f64 v[12:13], v[10:11], v[12:13], s[60:61]
	v_add_f64 v[16:17], v[18:19], -v[16:17]
	v_ldexp_f64 v[18:19], v[4:5], 1
	v_add_f64 v[4:5], v[22:23], v[24:25]
	v_ldexp_f64 v[20:21], v[6:7], 1
	v_add_f64 v[6:7], v[4:5], -v[22:23]
	v_mul_f64 v[22:23], v[10:11], v[12:13]
	v_fma_f64 v[10:11], v[10:11], v[12:13], -v[22:23]
	v_fmac_f64_e32 v[10:11], v[8:9], v[12:13]
	v_add_f64 v[8:9], v[22:23], v[10:11]
	v_add_f64 v[12:13], v[8:9], -v[22:23]
	v_add_f64 v[10:11], v[10:11], -v[12:13]
	v_add_f64 v[12:13], v[8:9], s[2:3]
	s_mov_b32 s69, 0xbfe55555
	s_mov_b32 s68, s2
	;; [unrolled: 1-line block ×3, first 2 shown]
	v_add_f64 v[22:23], v[12:13], s[68:69]
	s_mov_b32 s71, 0x3c8543b0
	v_add_f64 v[8:9], v[8:9], -v[22:23]
	v_add_f64 v[10:11], v[10:11], s[70:71]
	v_add_f64 v[8:9], v[10:11], v[8:9]
	;; [unrolled: 1-line block ×3, first 2 shown]
	v_add_f64 v[12:13], v[12:13], -v[10:11]
	v_add_f64 v[8:9], v[8:9], v[12:13]
	v_mul_f64 v[12:13], v[4:5], v[10:11]
	v_fma_f64 v[22:23], v[4:5], v[10:11], -v[12:13]
	v_add_f64 v[6:7], v[24:25], -v[6:7]
	v_fmac_f64_e32 v[22:23], v[4:5], v[8:9]
	v_fmac_f64_e32 v[22:23], v[6:7], v[10:11]
	v_add_f64 v[4:5], v[12:13], v[22:23]
	v_add_f64 v[6:7], v[4:5], -v[12:13]
	v_add_f64 v[8:9], v[18:19], v[4:5]
	v_add_f64 v[6:7], v[22:23], -v[6:7]
	v_add_f64 v[10:11], v[8:9], -v[18:19]
	;; [unrolled: 1-line block ×3, first 2 shown]
	v_add_f64 v[6:7], v[20:21], v[6:7]
	v_add_f64 v[4:5], v[6:7], v[4:5]
	;; [unrolled: 1-line block ×3, first 2 shown]
	v_add_f64 v[8:9], v[6:7], -v[8:9]
	v_add_f64 v[4:5], v[4:5], -v[8:9]
	v_add_f64 v[8:9], v[14:15], v[6:7]
	v_add_f64 v[10:11], v[8:9], -v[14:15]
	v_add_f64 v[12:13], v[8:9], -v[10:11]
	;; [unrolled: 1-line block ×4, first 2 shown]
	v_add_f64 v[6:7], v[6:7], v[12:13]
	v_add_f64 v[10:11], v[16:17], v[4:5]
	v_add_f64 v[12:13], v[10:11], -v[16:17]
	v_add_f64 v[6:7], v[10:11], v[6:7]
	v_add_f64 v[14:15], v[10:11], -v[12:13]
	;; [unrolled: 2-line block ×3, first 2 shown]
	v_add_f64 v[4:5], v[4:5], -v[12:13]
	v_add_f64 v[8:9], v[10:11], -v[8:9]
	v_add_f64 v[4:5], v[4:5], v[14:15]
	v_add_f64 v[6:7], v[6:7], -v[8:9]
	v_add_f64 v[4:5], v[4:5], v[6:7]
	v_add_f64 v[6:7], v[10:11], v[4:5]
	v_add_f64 v[8:9], v[6:7], -v[10:11]
	v_add_f64 v[4:5], v[4:5], -v[8:9]
	v_mul_f64 v[8:9], s[42:43], v[6:7]
	v_fma_f64 v[6:7], s[42:43], v[6:7], -v[8:9]
	v_fmac_f64_e32 v[6:7], s[42:43], v[4:5]
	s_movk_i32 s39, 0x204
	v_add_f64 v[4:5], v[8:9], v[6:7]
	v_cmp_class_f64_e64 vcc, v[8:9], s39
	s_mov_b32 s72, 0x652b82fe
	v_add_f64 v[10:11], v[4:5], -v[8:9]
	v_cndmask_b32_e32 v9, v5, v9, vcc
	v_cndmask_b32_e32 v8, v4, v8, vcc
	s_mov_b32 s73, 0x3ff71547
	v_mul_f64 v[4:5], v[8:9], s[72:73]
	v_add_f64 v[6:7], v[6:7], -v[10:11]
	v_rndne_f64_e32 v[10:11], v[4:5]
	s_mov_b32 s75, 0xbfe62e42
	s_mov_b32 s74, s62
	;; [unrolled: 1-line block ×3, first 2 shown]
	v_fma_f64 v[12:13], s[74:75], v[10:11], v[8:9]
	s_mov_b32 s77, 0xbc7abc9e
	s_mov_b32 s76, s66
	;; [unrolled: 1-line block ×4, first 2 shown]
	v_fmac_f64_e32 v[12:13], s[76:77], v[10:11]
	s_mov_b32 s79, 0x3e5ade15
	v_pk_mov_b32 v[4:5], s[0:1], s[0:1] op_sel:[0,1]
	s_mov_b32 s80, 0x623fde64
	v_fma_f64 v[14:15], s[78:79], v[12:13], v[4:5]
	s_mov_b32 s81, 0x3ec71dee
	s_mov_b32 s82, 0x7c89e6b0
	v_fma_f64 v[14:15], v[12:13], v[14:15], s[80:81]
	s_mov_b32 s83, 0x3efa0199
	s_mov_b32 s84, 0x14761f6e
	v_fma_f64 v[14:15], v[12:13], v[14:15], s[82:83]
	s_mov_b32 s85, 0x3f2a01a0
	s_mov_b32 s86, 0x1852b7b0
	v_fma_f64 v[14:15], v[12:13], v[14:15], s[84:85]
	s_mov_b32 s87, 0x3f56c16c
	s_mov_b32 s88, 0x11122322
	v_fma_f64 v[14:15], v[12:13], v[14:15], s[86:87]
	s_mov_b32 s89, 0x3f811111
	s_mov_b32 s90, 0x555502a1
	v_fma_f64 v[14:15], v[12:13], v[14:15], s[88:89]
	s_mov_b32 s91, 0x3fa55555
	s_mov_b32 s92, 0x55555511
	v_fma_f64 v[14:15], v[12:13], v[14:15], s[90:91]
	s_mov_b32 s93, 0x3fc55555
	s_mov_b32 s94, 11
	v_fma_f64 v[14:15], v[12:13], v[14:15], s[92:93]
	s_mov_b32 s95, 0x3fe00000
	s_mov_b32 s50, 0
	v_fma_f64 v[14:15], v[12:13], v[14:15], s[94:95]
	s_mov_b32 s51, 0x7ff00000
	v_fma_f64 v[14:15], v[12:13], v[14:15], 1.0
	s_mov_b32 s24, 0
	v_cmp_neq_f64_e64 vcc, |v[8:9]|, s[50:51]
	v_fma_f64 v[12:13], v[12:13], v[14:15], 1.0
	v_cvt_i32_f64_e32 v1, v[10:11]
	s_mov_b32 s25, 0x40900000
	v_cndmask_b32_e32 v7, 0, v7, vcc
	v_cndmask_b32_e32 v6, 0, v6, vcc
	v_ldexp_f64 v[10:11], v[12:13], v1
	v_cmp_lt_f64_e32 vcc, s[24:25], v[8:9]
	v_mov_b32_e32 v32, 0x7ff00000
	v_cndmask_b32_e32 v12, v11, v32, vcc
	v_and_b32_e32 v11, 0x7fffffff, v11
	s_mov_b32 s26, 0
	v_cmp_eq_f64_e64 s[0:1], s[50:51], v[10:11]
	s_mov_b32 s27, 0xc090cc00
	v_cndmask_b32_e64 v1, v10, 0, vcc
	s_or_b64 s[0:1], vcc, s[0:1]
	v_cmp_ngt_f64_e32 vcc, s[26:27], v[8:9]
	v_cndmask_b32_e32 v9, 0, v12, vcc
	v_cndmask_b32_e32 v8, 0, v1, vcc
	v_pk_mov_b32 v[10:11], v[8:9], v[8:9] op_sel:[0,1]
	v_fmac_f64_e32 v[10:11], v[10:11], v[6:7]
	s_and_b64 vcc, vcc, s[0:1]
	v_cndmask_b32_e32 v1, v10, v8, vcc
	v_cndmask_b32_e32 v12, v11, v9, vcc
	v_mul_f64 v[8:9], s[42:43], 0.5
	v_trunc_f64_e32 v[6:7], s[42:43]
	v_trunc_f64_e32 v[10:11], v[8:9]
	v_cmp_neq_f64_e32 vcc, v[10:11], v[8:9]
	v_cmp_eq_f64_e64 s[0:1], s[42:43], v[6:7]
	s_and_b64 s[6:7], s[0:1], vcc
	s_and_b64 s[8:9], s[6:7], exec
	s_cselect_b32 s8, s35, 0x3ff00000
	v_mov_b32_e32 v6, s8
	s_brev_b32 s8, -2
	v_mov_b32_e32 v33, 0x7ff80000
	v_bfi_b32 v6, s8, v12, v6
	s_and_b32 s9, s38, 0x7fffffff
	v_cndmask_b32_e64 v7, v33, v6, s[0:1]
	v_cndmask_b32_e64 v8, 0, v1, s[0:1]
	s_and_b64 s[0:1], s[64:65], exec
	v_cmp_lt_f64_e64 vcc, s[34:35], 0
	s_cselect_b32 s1, 0x3ff00000, s9
	s_cselect_b32 s0, 0, s53
	v_cndmask_b32_e32 v10, v6, v7, vcc
	v_pk_mov_b32 v[6:7], s[0:1], s[0:1] op_sel:[0,1]
	v_cndmask_b32_e32 v1, v1, v8, vcc
	v_cmp_neq_f64_e32 vcc, s[42:43], v[6:7]
	v_cmp_lt_f64_e64 s[64:65], s[58:59], 1.0
	s_xor_b64 s[64:65], vcc, s[64:65]
	s_and_b64 s[64:65], s[64:65], exec
	v_cmp_eq_f64_e64 s[64:65], s[58:59], 1.0
	s_cselect_b32 s37, 0, s1
	s_cselect_b32 vcc_lo, 0, s0
	s_and_b64 s[64:65], s[64:65], exec
	s_cselect_b32 s37, s59, s37
	v_mov_b32_e32 v6, s37
	s_cselect_b32 s37, s58, vcc_lo
	v_pk_mov_b32 v[8:9], s[50:51], s[50:51] op_sel:[0,1]
	v_mov_b32_e32 v7, s37
	v_cmp_eq_f64_e32 vcc, s[0:1], v[8:9]
	v_cndmask_b32_e32 v6, v10, v6, vcc
	v_cndmask_b32_e32 v1, v1, v7, vcc
	v_cmp_eq_f64_e32 vcc, s[58:59], v[8:9]
	v_cmp_eq_f64_e64 s[0:1], s[34:35], 0
	v_cmp_lt_f64_e64 s[58:59], s[42:43], 0
	s_xor_b64 s[58:59], s[58:59], s[0:1]
	s_or_b64 vcc, vcc, s[0:1]
	s_and_b64 s[0:1], s[58:59], exec
	s_cselect_b32 s37, 0, 0x7ff00000
	s_and_b64 s[0:1], s[6:7], exec
	s_cselect_b32 s0, s35, 0
	v_mov_b32_e32 v7, s37
	v_mov_b32_e32 v10, s0
	v_cmp_eq_f64_e64 s[6:7], s[18:19], 1.0
	v_bfi_b32 v7, s8, v7, v10
	s_and_b64 s[0:1], s[6:7], exec
	v_cndmask_b32_e32 v11, v6, v7, vcc
	v_pk_mov_b32 v[6:7], s[42:43], s[42:43] op_sel:[0,1]
	s_cselect_b32 s43, 0x3ff00000, s38
	s_cselect_b32 s42, 0, s53
	v_cmp_eq_f64_e64 s[0:1], s[42:43], 0
	s_and_b64 s[58:59], s[0:1], exec
	s_cselect_b32 s59, 0x3ff00000, s19
	s_cselect_b32 s58, 0, s18
	s_and_b32 s37, s19, 0x7fffffff
	s_and_b64 s[0:1], s[0:1], exec
	s_cselect_b32 s65, 0x3ff00000, s37
	s_cselect_b32 s64, 0, s18
	v_frexp_mant_f64_e32 v[12:13], s[64:65]
	v_cndmask_b32_e64 v10, v1, 0, vcc
	v_cmp_gt_f64_e32 vcc, s[2:3], v[12:13]
	s_and_b64 s[0:1], vcc, exec
	s_cselect_b32 s37, 2.0, 0x3ff00000
	v_mul_f64 v[12:13], v[12:13], s[36:37]
	v_add_f64 v[14:15], v[12:13], 1.0
	v_rcp_f64_e32 v[16:17], v[14:15]
	v_add_f64 v[20:21], v[14:15], -1.0
	v_add_f64 v[18:19], v[12:13], -1.0
	v_add_f64 v[12:13], v[12:13], -v[20:21]
	v_fma_f64 v[20:21], -v[14:15], v[16:17], 1.0
	v_fmac_f64_e32 v[16:17], v[20:21], v[16:17]
	v_fma_f64 v[20:21], -v[14:15], v[16:17], 1.0
	v_fmac_f64_e32 v[16:17], v[20:21], v[16:17]
	v_mul_f64 v[20:21], v[18:19], v[16:17]
	v_mul_f64 v[22:23], v[14:15], v[20:21]
	v_fma_f64 v[14:15], v[20:21], v[14:15], -v[22:23]
	v_fmac_f64_e32 v[14:15], v[20:21], v[12:13]
	v_add_f64 v[12:13], v[22:23], v[14:15]
	v_add_f64 v[24:25], v[18:19], -v[12:13]
	v_add_f64 v[22:23], v[12:13], -v[22:23]
	v_add_f64 v[18:19], v[18:19], -v[24:25]
	v_add_f64 v[12:13], v[18:19], -v[12:13]
	v_add_f64 v[14:15], v[22:23], -v[14:15]
	v_add_f64 v[12:13], v[14:15], v[12:13]
	v_add_f64 v[12:13], v[24:25], v[12:13]
	v_mul_f64 v[12:13], v[16:17], v[12:13]
	v_add_f64 v[14:15], v[20:21], v[12:13]
	v_add_f64 v[16:17], v[14:15], -v[20:21]
	v_frexp_exp_i32_f64_e32 v1, s[64:65]
	v_add_f64 v[12:13], v[12:13], -v[16:17]
	v_mul_f64 v[16:17], v[14:15], v[14:15]
	v_subbrev_co_u32_e64 v1, s[0:1], 0, v1, vcc
	v_fma_f64 v[18:19], v[14:15], v[14:15], -v[16:17]
	v_add_f64 v[20:21], v[12:13], v[12:13]
	v_fmac_f64_e32 v[18:19], v[14:15], v[20:21]
	s_mov_b32 s0, 0x4222de17
	v_add_f64 v[20:21], v[16:17], v[18:19]
	s_mov_b32 s1, 0x3fbdee67
	v_fmac_f64_e32 v[2:3], s[0:1], v[20:21]
	v_fma_f64 v[2:3], v[20:21], v[2:3], s[40:41]
	v_add_f64 v[16:17], v[20:21], -v[16:17]
	v_fma_f64 v[2:3], v[20:21], v[2:3], s[10:11]
	v_add_f64 v[16:17], v[18:19], -v[16:17]
	v_cvt_f64_i32_e32 v[18:19], v1
	v_fma_f64 v[2:3], v[20:21], v[2:3], s[12:13]
	v_mul_f64 v[22:23], v[18:19], s[62:63]
	v_mul_f64 v[28:29], v[14:15], v[20:21]
	v_fma_f64 v[2:3], v[20:21], v[2:3], s[14:15]
	v_fma_f64 v[24:25], v[18:19], s[62:63], -v[22:23]
	v_fma_f64 v[30:31], v[20:21], v[14:15], -v[28:29]
	v_fma_f64 v[2:3], v[20:21], v[2:3], s[54:55]
	v_fmac_f64_e32 v[24:25], s[66:67], v[18:19]
	v_fmac_f64_e32 v[30:31], v[20:21], v[12:13]
	v_fma_f64 v[2:3], v[20:21], v[2:3], s[56:57]
	v_add_f64 v[18:19], v[22:23], v[24:25]
	v_fmac_f64_e32 v[30:31], v[16:17], v[14:15]
	v_fma_f64 v[2:3], v[20:21], v[2:3], s[60:61]
	v_add_f64 v[22:23], v[18:19], -v[22:23]
	v_ldexp_f64 v[26:27], v[12:13], 1
	v_add_f64 v[12:13], v[28:29], v[30:31]
	v_add_f64 v[22:23], v[24:25], -v[22:23]
	v_ldexp_f64 v[24:25], v[14:15], 1
	v_add_f64 v[14:15], v[12:13], -v[28:29]
	v_mul_f64 v[28:29], v[20:21], v[2:3]
	v_fma_f64 v[20:21], v[20:21], v[2:3], -v[28:29]
	v_fmac_f64_e32 v[20:21], v[16:17], v[2:3]
	v_add_f64 v[2:3], v[28:29], v[20:21]
	v_add_f64 v[16:17], v[2:3], -v[28:29]
	v_add_f64 v[16:17], v[20:21], -v[16:17]
	v_add_f64 v[20:21], v[2:3], s[2:3]
	v_add_f64 v[28:29], v[20:21], s[68:69]
	v_add_f64 v[2:3], v[2:3], -v[28:29]
	v_add_f64 v[16:17], v[16:17], s[70:71]
	v_add_f64 v[2:3], v[16:17], v[2:3]
	;; [unrolled: 1-line block ×3, first 2 shown]
	v_add_f64 v[20:21], v[20:21], -v[16:17]
	v_add_f64 v[2:3], v[2:3], v[20:21]
	v_mul_f64 v[20:21], v[12:13], v[16:17]
	v_fma_f64 v[28:29], v[12:13], v[16:17], -v[20:21]
	v_add_f64 v[14:15], v[30:31], -v[14:15]
	v_fmac_f64_e32 v[28:29], v[12:13], v[2:3]
	v_fmac_f64_e32 v[28:29], v[14:15], v[16:17]
	v_add_f64 v[2:3], v[20:21], v[28:29]
	v_add_f64 v[12:13], v[2:3], -v[20:21]
	v_add_f64 v[14:15], v[24:25], v[2:3]
	v_add_f64 v[12:13], v[28:29], -v[12:13]
	v_add_f64 v[16:17], v[14:15], -v[24:25]
	;; [unrolled: 1-line block ×3, first 2 shown]
	v_add_f64 v[12:13], v[26:27], v[12:13]
	v_add_f64 v[2:3], v[12:13], v[2:3]
	;; [unrolled: 1-line block ×3, first 2 shown]
	v_add_f64 v[14:15], v[12:13], -v[14:15]
	v_add_f64 v[2:3], v[2:3], -v[14:15]
	v_add_f64 v[14:15], v[18:19], v[12:13]
	v_add_f64 v[16:17], v[14:15], -v[18:19]
	v_add_f64 v[20:21], v[14:15], -v[16:17]
	v_add_f64 v[18:19], v[18:19], -v[20:21]
	v_add_f64 v[12:13], v[12:13], -v[16:17]
	v_add_f64 v[12:13], v[12:13], v[18:19]
	v_add_f64 v[16:17], v[22:23], v[2:3]
	v_add_f64 v[18:19], v[16:17], -v[22:23]
	v_add_f64 v[12:13], v[16:17], v[12:13]
	v_add_f64 v[20:21], v[16:17], -v[18:19]
	;; [unrolled: 2-line block ×3, first 2 shown]
	v_add_f64 v[2:3], v[2:3], -v[18:19]
	v_add_f64 v[14:15], v[16:17], -v[14:15]
	v_add_f64 v[2:3], v[2:3], v[20:21]
	v_add_f64 v[12:13], v[12:13], -v[14:15]
	v_add_f64 v[2:3], v[2:3], v[12:13]
	v_add_f64 v[12:13], v[16:17], v[2:3]
	v_add_f64 v[14:15], v[12:13], -v[16:17]
	v_add_f64 v[2:3], v[2:3], -v[14:15]
	v_mul_f64 v[14:15], s[42:43], v[12:13]
	v_fma_f64 v[12:13], s[42:43], v[12:13], -v[14:15]
	v_fmac_f64_e32 v[12:13], s[42:43], v[2:3]
	v_add_f64 v[2:3], v[14:15], v[12:13]
	v_cmp_class_f64_e64 vcc, v[14:15], s39
	v_add_f64 v[16:17], v[2:3], -v[14:15]
	v_cndmask_b32_e32 v3, v3, v15, vcc
	v_cndmask_b32_e32 v2, v2, v14, vcc
	v_mul_f64 v[14:15], v[2:3], s[72:73]
	v_rndne_f64_e32 v[14:15], v[14:15]
	v_add_f64 v[12:13], v[12:13], -v[16:17]
	v_fma_f64 v[16:17], s[74:75], v[14:15], v[2:3]
	v_fmac_f64_e32 v[16:17], s[76:77], v[14:15]
	v_fmac_f64_e32 v[4:5], s[78:79], v[16:17]
	v_fma_f64 v[4:5], v[16:17], v[4:5], s[80:81]
	v_fma_f64 v[4:5], v[16:17], v[4:5], s[82:83]
	;; [unrolled: 1-line block ×8, first 2 shown]
	v_fma_f64 v[4:5], v[16:17], v[4:5], 1.0
	v_cmp_neq_f64_e64 vcc, |v[2:3]|, s[50:51]
	v_fma_f64 v[4:5], v[16:17], v[4:5], 1.0
	v_cvt_i32_f64_e32 v1, v[14:15]
	v_cndmask_b32_e32 v13, 0, v13, vcc
	v_cndmask_b32_e32 v12, 0, v12, vcc
	v_ldexp_f64 v[4:5], v[4:5], v1
	v_cmp_lt_f64_e32 vcc, s[24:25], v[2:3]
	v_cndmask_b32_e64 v1, v4, 0, vcc
	v_cndmask_b32_e32 v14, v5, v32, vcc
	v_cmp_ngt_f64_e64 s[0:1], s[26:27], v[2:3]
	v_and_b32_e32 v5, 0x7fffffff, v5
	v_cndmask_b32_e64 v3, 0, v14, s[0:1]
	v_cndmask_b32_e64 v2, 0, v1, s[0:1]
	v_cmp_eq_f64_e64 s[2:3], s[50:51], v[4:5]
	v_pk_mov_b32 v[14:15], v[2:3], v[2:3] op_sel:[0,1]
	s_or_b64 s[2:3], vcc, s[2:3]
	v_fmac_f64_e32 v[14:15], v[14:15], v[12:13]
	s_and_b64 vcc, s[0:1], s[2:3]
	v_mul_f64 v[4:5], s[42:43], 0.5
	v_cndmask_b32_e32 v1, v14, v2, vcc
	v_cndmask_b32_e32 v14, v15, v3, vcc
	v_trunc_f64_e32 v[2:3], s[42:43]
	v_trunc_f64_e32 v[12:13], v[4:5]
	v_cmp_neq_f64_e32 vcc, v[12:13], v[4:5]
	v_cmp_eq_f64_e64 s[0:1], s[42:43], v[2:3]
	s_and_b64 s[2:3], s[0:1], vcc
	s_and_b64 s[10:11], s[2:3], exec
	s_cselect_b32 s10, s59, 0x3ff00000
	v_mov_b32_e32 v2, s10
	v_bfi_b32 v2, s8, v14, v2
	v_cndmask_b32_e64 v3, v33, v2, s[0:1]
	v_cndmask_b32_e64 v4, 0, v1, s[0:1]
	s_and_b64 s[0:1], s[6:7], exec
	v_cmp_lt_f64_e64 vcc, s[58:59], 0
	s_cselect_b32 s1, 0x3ff00000, s9
	s_cselect_b32 s0, 0, s53
	v_cndmask_b32_e32 v1, v1, v4, vcc
	v_cndmask_b32_e32 v4, v2, v3, vcc
	v_pk_mov_b32 v[2:3], s[0:1], s[0:1] op_sel:[0,1]
	v_cmp_neq_f64_e32 vcc, s[42:43], v[2:3]
	v_cmp_lt_f64_e64 s[10:11], s[64:65], 1.0
	s_xor_b64 s[10:11], vcc, s[10:11]
	v_cmp_eq_f64_e64 s[6:7], s[64:65], 1.0
	s_and_b64 s[10:11], s[10:11], exec
	s_cselect_b32 s9, 0, s1
	s_cselect_b32 s10, 0, s0
	s_and_b64 s[6:7], s[6:7], exec
	s_cselect_b32 s7, s65, s9
	s_cselect_b32 s6, s64, s10
	v_mov_b32_e32 v2, s7
	v_cmp_eq_f64_e32 vcc, s[0:1], v[8:9]
	v_cndmask_b32_e32 v3, v4, v2, vcc
	v_mov_b32_e32 v2, s6
	v_cndmask_b32_e32 v1, v1, v2, vcc
	v_cmp_eq_f64_e32 vcc, s[64:65], v[8:9]
	v_cmp_eq_f64_e64 s[0:1], s[58:59], 0
	v_cmp_lt_f64_e64 s[6:7], s[42:43], 0
	s_xor_b64 s[6:7], s[6:7], s[0:1]
	s_or_b64 vcc, vcc, s[0:1]
	s_and_b64 s[0:1], s[6:7], exec
	s_cselect_b32 s6, 0, 0x7ff00000
	s_and_b64 s[0:1], s[2:3], exec
	s_cselect_b32 s0, s59, 0
	v_mov_b32_e32 v2, s6
	v_mov_b32_e32 v4, s0
	v_bfi_b32 v4, s8, v2, v4
	v_cndmask_b32_e64 v2, v1, 0, vcc
	v_cndmask_b32_e32 v3, v3, v4, vcc
	v_pk_mov_b32 v[4:5], s[42:43], s[42:43] op_sel:[0,1]
	v_add_f64 v[2:3], -v[2:3], 1.0
	v_cmp_o_f64_e32 vcc, s[58:59], v[4:5]
	s_mov_b32 s0, 0
	v_cndmask_b32_e32 v3, v33, v3, vcc
	v_cndmask_b32_e32 v2, 0, v2, vcc
	s_brev_b32 s1, 8
	v_cmp_gt_f64_e32 vcc, s[0:1], v[2:3]
	v_cndmask_b32_e64 v1, 0, 1, vcc
	v_lshlrev_b32_e32 v1, 8, v1
	v_ldexp_f64 v[4:5], v[2:3], v1
	v_rsq_f64_e32 v[8:9], v[4:5]
	v_add_f64 v[10:11], -v[10:11], 1.0
	v_cmp_o_f64_e64 s[0:1], s[34:35], v[6:7]
	v_cndmask_b32_e64 v3, v33, v11, s[0:1]
	v_mul_f64 v[6:7], v[4:5], v[8:9]
	v_mul_f64 v[8:9], v[8:9], 0.5
	v_cndmask_b32_e64 v2, 0, v10, s[0:1]
	v_fma_f64 v[10:11], -v[8:9], v[6:7], 0.5
	v_fmac_f64_e32 v[6:7], v[6:7], v[10:11]
	v_fma_f64 v[12:13], -v[6:7], v[6:7], v[4:5]
	v_fmac_f64_e32 v[8:9], v[8:9], v[10:11]
	v_fmac_f64_e32 v[6:7], v[12:13], v[8:9]
	v_fma_f64 v[10:11], -v[6:7], v[6:7], v[4:5]
	s_and_b64 s[0:1], vcc, exec
	v_fmac_f64_e32 v[6:7], v[10:11], v[8:9]
	s_cselect_b32 s0, 0xffffff80, 0
	v_ldexp_f64 v[6:7], v[6:7], s0
	s_load_dword s0, s[4:5], 0xd40
	v_readlane_b32 s2, v76, 4
	v_readlane_b32 s3, v76, 5
	s_sub_u32 s30, s2, s30
	s_subb_u32 s31, s3, s31
	s_waitcnt lgkmcnt(0)
	s_bitcmp1_b32 s0, 0
	s_cselect_b64 s[34:35], -1, 0
	s_and_b32 s0, s2, 3
	s_mov_b32 s1, s36
	s_cmp_eq_u64 s[0:1], 0
	v_readlane_b32 s2, v76, 14
	v_mov_b32_e32 v1, 0x260
	s_cselect_b64 s[0:1], -1, 0
	v_readlane_b32 s3, v76, 15
	v_cmp_class_f64_e32 vcc, v[4:5], v1
	s_and_b64 s[2:3], s[0:1], s[2:3]
	v_cndmask_b32_e32 v5, v7, v5, vcc
	v_cndmask_b32_e32 v4, v6, v4, vcc
	s_mov_b64 s[0:1], -1
	s_and_b64 vcc, exec, s[2:3]
	s_cbranch_vccnz .LBB0_70
; %bb.9:
	v_cmp_lt_i64_e64 s[0:1], s[30:31], 1
	s_and_b64 vcc, exec, s[0:1]
	s_cbranch_vccnz .LBB0_69
; %bb.10:
	s_load_dword s0, s[4:5], 0xd64
	v_mov_b32_e32 v8, 0x10000
	v_mov_b32_e32 v9, 0
	v_cmp_lt_u64_e32 vcc, s[30:31], v[8:9]
	v_cvt_f32_f64_e32 v1, v[2:3]
	s_waitcnt lgkmcnt(0)
	s_and_b32 s6, s0, 0xffff
	s_and_b64 s[0:1], vcc, exec
	s_load_dwordx4 s[0:3], s[4:5], 0xd30
	v_mov_b32_e32 v7, 0
	v_readlane_b32 s10, v76, 6
	v_readlane_b32 s11, v76, 7
	v_mov_b32_e32 v25, s11
	s_waitcnt lgkmcnt(0)
	v_cvt_f32_f64_e32 v41, s[0:1]
	v_div_scale_f32 v6, s[0:1], v1, v1, v38
	v_rcp_f32_e32 v8, v6
	v_cvt_f32_f64_e32 v42, s[2:3]
	v_readlane_b32 s12, v76, 8
	v_readlane_b32 s13, v76, 9
	v_fma_f32 v9, -v6, v8, 1.0
	v_fmac_f32_e32 v8, v9, v8
	v_div_scale_f32 v9, vcc, v38, v1, v38
	v_mul_f32_e32 v10, v9, v8
	v_fma_f32 v11, -v6, v10, v9
	v_fmac_f32_e32 v10, v11, v8
	v_fma_f32 v6, -v6, v10, v9
	v_div_fmas_f32 v6, v6, v8, v10
	v_div_fixup_f32 v44, v6, v1, v38
	v_lshlrev_b32_e32 v6, 2, v0
	v_mad_u64_u32 v[14:15], s[2:3], s6, 12, v[6:7]
	v_add_co_u32_e64 v12, s[2:3], s10, v14
	v_addc_co_u32_e64 v9, s[2:3], v25, v15, s[2:3]
	v_mov_b32_e32 v29, s13
	v_lshlrev_b32_e32 v32, 1, v0
	v_mov_b32_e32 v33, v7
	v_readlane_b32 s14, v76, 10
	v_add_co_u32_e64 v14, s[2:3], s12, v14
	v_readlane_b32 s15, v76, 11
	v_addc_co_u32_e64 v11, s[2:3], v29, v15, s[2:3]
	v_mad_u64_u32 v[18:19], s[2:3], s6, 6, v[32:33]
	v_mov_b32_e32 v35, s15
	v_readlane_b32 s24, v76, 12
	v_add_co_u32_e64 v16, s[2:3], s14, v18
	v_readlane_b32 s25, v76, 13
	v_addc_co_u32_e64 v13, s[2:3], v35, v19, s[2:3]
	v_mov_b32_e32 v37, s25
	v_add_co_u32_e64 v18, s[2:3], s24, v18
	s_cselect_b32 s37, s31, 0
	s_cselect_b32 s36, s30, 0x10000
	s_lshl_b32 s7, s6, 1
	s_mul_i32 s8, s6, 3
	v_addc_co_u32_e64 v15, s[2:3], v37, v19, s[2:3]
	s_cmp_lg_u64 s[20:21], 0
	v_add_co_u32_e64 v45, s[2:3], s8, v0
	s_cselect_b64 s[40:41], -1, 0
	s_lshl_b32 s43, s6, 3
	v_addc_co_u32_e64 v46, s[2:3], 0, 0, s[2:3]
	v_add_co_u32_e64 v19, s[2:3], s43, v6
	v_addc_co_u32_e64 v21, s[2:3], 0, 0, s[2:3]
	v_add_co_u32_e64 v20, s[2:3], s10, v19
	;; [unrolled: 2-line block ×3, first 2 shown]
	s_lshl_b32 s27, s6, 2
	v_addc_co_u32_e64 v19, s[2:3], v29, v21, s[2:3]
	v_add_co_u32_e64 v23, s[2:3], s27, v32
	v_addc_co_u32_e64 v27, s[2:3], 0, 0, s[2:3]
	v_add_co_u32_e64 v24, s[2:3], s14, v23
	;; [unrolled: 2-line block ×5, first 2 shown]
	v_addc_co_u32_e64 v50, s[2:3], 0, 0, s[2:3]
	v_lshlrev_b32_e32 v30, 2, v49
	v_add_co_u32_e32 v8, vcc, s10, v6
	v_add_co_u32_e64 v28, s[2:3], s10, v30
	v_addc_co_u32_e32 v1, vcc, 0, v25, vcc
	v_addc_co_u32_e64 v25, s[2:3], 0, v25, s[2:3]
	v_add_co_u32_e64 v6, s[2:3], s12, v6
	v_addc_co_u32_e64 v27, s[2:3], 0, v29, s[2:3]
	v_add_co_u32_e64 v30, s[2:3], s12, v30
	v_addc_co_u32_e64 v29, s[2:3], 0, v29, s[2:3]
	v_add_co_u32_e32 v10, vcc, s24, v32
	v_add_co_u32_e64 v32, s[2:3], s14, v32
	v_lshlrev_b32_e32 v36, 1, v49
	v_addc_co_u32_e64 v31, s[2:3], 0, v35, s[2:3]
	v_add_co_u32_e64 v34, s[2:3], s14, v36
	v_addc_co_u32_e64 v33, s[2:3], 0, v35, s[2:3]
	s_mov_b32 s26, 0
	v_add_co_u32_e64 v36, s[2:3], s24, v36
	v_cvt_f32_f64_e32 v39, s[16:17]
	v_cvt_f32_f64_e32 v40, s[18:19]
	;; [unrolled: 1-line block ×3, first 2 shown]
	s_mov_b64 s[38:39], 0
	v_cmp_neq_f32_e64 s[0:1], 0, v41
	s_lshl_b32 s42, s6, 4
	s_mov_b32 s50, s26
	s_mov_b32 s51, 0xf800000
	s_movk_i32 s53, 0x7fff
	v_addc_co_u32_e32 v35, vcc, 0, v37, vcc
	v_addc_co_u32_e64 v37, vcc, 0, v37, s[2:3]
	v_mov_b32_e32 v51, 0x260
	v_mov_b32_e32 v52, 0x7fc0
	s_branch .LBB0_13
.LBB0_11:                               ;   in Loop: Header=BB0_13 Depth=1
	s_or_b64 exec, exec, s[2:3]
.LBB0_12:                               ;   in Loop: Header=BB0_13 Depth=1
	s_add_u32 s38, s38, s27
	s_addc_u32 s39, s39, 0
	v_pk_mov_b32 v[54:55], s[30:31], s[30:31] op_sel:[0,1]
	v_cmp_lt_i64_e32 vcc, s[38:39], v[54:55]
	v_mov_b32_e32 v54, 0x10000
	v_mov_b32_e32 v55, 0
	v_cmp_lt_u64_e64 s[2:3], s[38:39], v[54:55]
	s_and_b64 s[2:3], vcc, s[2:3]
	v_mov_b32_e32 v53, s26
	v_add_co_u32_e32 v8, vcc, s42, v8
	v_addc_co_u32_e32 v1, vcc, v1, v53, vcc
	v_add_co_u32_e32 v6, vcc, s42, v6
	v_addc_co_u32_e32 v27, vcc, v27, v53, vcc
	v_mov_b32_e32 v54, s50
	v_add_co_u32_e32 v32, vcc, s43, v32
	v_addc_co_u32_e32 v31, vcc, v31, v54, vcc
	v_add_co_u32_e32 v10, vcc, s43, v10
	v_addc_co_u32_e32 v35, vcc, v35, v54, vcc
	;; [unrolled: 2-line block ×14, first 2 shown]
	s_and_b64 vcc, exec, s[2:3]
	s_cbranch_vccz .LBB0_69
.LBB0_13:                               ; =>This Inner Loop Header: Depth=1
	v_mov_b32_e32 v53, s39
	v_add_co_u32_e32 v54, vcc, s38, v0
	v_addc_co_u32_e32 v55, vcc, 0, v53, vcc
	v_cmp_gt_u64_e64 s[2:3], s[36:37], v[54:55]
	v_mov_b32_e32 v60, 0
	v_mov_b32_e32 v53, 0
	;; [unrolled: 1-line block ×4, first 2 shown]
	s_and_saveexec_b64 s[6:7], s[2:3]
	s_cbranch_execz .LBB0_15
; %bb.14:                               ;   in Loop: Header=BB0_13 Depth=1
	v_mov_b32_e32 v53, s23
	v_add_co_u32_e32 v54, vcc, s22, v8
	v_addc_co_u32_e32 v55, vcc, v1, v53, vcc
	global_load_dword v60, v[54:55], off
	v_add_co_u32_e32 v54, vcc, s22, v6
	v_addc_co_u32_e32 v55, vcc, v27, v53, vcc
	v_mov_b32_e32 v53, s29
	v_add_co_u32_e32 v56, vcc, s28, v32
	v_addc_co_u32_e32 v57, vcc, v31, v53, vcc
	v_add_co_u32_e32 v58, vcc, s28, v10
	v_addc_co_u32_e32 v59, vcc, v35, v53, vcc
	global_load_ushort v56, v[56:57], off
	s_nop 0
	global_load_ushort v57, v[58:59], off
	global_load_dword v53, v[54:55], off
	s_waitcnt vmcnt(2)
	v_lshlrev_b32_e32 v61, 16, v56
	s_waitcnt vmcnt(1)
	v_lshlrev_b32_e32 v68, 16, v57
.LBB0_15:                               ;   in Loop: Header=BB0_13 Depth=1
	s_or_b64 exec, exec, s[6:7]
	v_mov_b32_e32 v55, s39
	v_add_co_u32_e32 v54, vcc, s38, v49
	v_addc_co_u32_e32 v55, vcc, v50, v55, vcc
	v_cmp_gt_u64_e64 s[6:7], s[36:37], v[54:55]
	v_mov_b32_e32 v65, 0
	v_mov_b32_e32 v59, 0
	;; [unrolled: 1-line block ×3, first 2 shown]
	s_and_saveexec_b64 s[8:9], s[6:7]
	s_cbranch_execz .LBB0_17
; %bb.16:                               ;   in Loop: Header=BB0_13 Depth=1
	v_mov_b32_e32 v57, s23
	v_add_co_u32_e32 v54, vcc, s22, v30
	v_addc_co_u32_e32 v55, vcc, v29, v57, vcc
	v_add_co_u32_e32 v56, vcc, s22, v28
	v_addc_co_u32_e32 v57, vcc, v25, v57, vcc
	global_load_dword v59, v[56:57], off
	s_nop 0
	global_load_dword v54, v[54:55], off
.LBB0_17:                               ;   in Loop: Header=BB0_13 Depth=1
	s_or_b64 exec, exec, s[8:9]
	v_mov_b32_e32 v67, 0
	s_and_saveexec_b64 s[8:9], s[6:7]
	s_cbranch_execz .LBB0_19
; %bb.18:                               ;   in Loop: Header=BB0_13 Depth=1
	v_mov_b32_e32 v55, s29
	v_add_co_u32_e32 v56, vcc, s28, v34
	v_addc_co_u32_e32 v57, vcc, v33, v55, vcc
	v_add_co_u32_e32 v62, vcc, s28, v36
	v_addc_co_u32_e32 v63, vcc, v37, v55, vcc
	global_load_ushort v55, v[56:57], off
	s_nop 0
	global_load_ushort v56, v[62:63], off
	s_waitcnt vmcnt(1)
	v_lshlrev_b32_e32 v65, 16, v55
	s_waitcnt vmcnt(0)
	v_lshlrev_b32_e32 v67, 16, v56
.LBB0_19:                               ;   in Loop: Header=BB0_13 Depth=1
	s_or_b64 exec, exec, s[8:9]
	v_mov_b32_e32 v55, s39
	v_add_co_u32_e32 v56, vcc, s38, v47
	v_addc_co_u32_e32 v57, vcc, v48, v55, vcc
	v_cmp_gt_u64_e64 s[8:9], s[36:37], v[56:57]
	v_mov_b32_e32 v63, 0
	v_mov_b32_e32 v58, 0
	;; [unrolled: 1-line block ×3, first 2 shown]
	s_and_saveexec_b64 s[10:11], s[8:9]
	s_cbranch_execz .LBB0_21
; %bb.20:                               ;   in Loop: Header=BB0_13 Depth=1
	v_mov_b32_e32 v55, s23
	v_add_co_u32_e32 v56, vcc, s22, v22
	v_addc_co_u32_e32 v57, vcc, v19, v55, vcc
	v_add_co_u32_e32 v70, vcc, s22, v20
	v_addc_co_u32_e32 v71, vcc, v17, v55, vcc
	global_load_dword v58, v[70:71], off
	global_load_dword v55, v[56:57], off
.LBB0_21:                               ;   in Loop: Header=BB0_13 Depth=1
	s_or_b64 exec, exec, s[10:11]
	v_mov_b32_e32 v66, 0
	s_and_saveexec_b64 s[10:11], s[8:9]
	s_cbranch_execz .LBB0_23
; %bb.22:                               ;   in Loop: Header=BB0_13 Depth=1
	v_mov_b32_e32 v63, s29
	v_add_co_u32_e32 v56, vcc, s28, v24
	v_addc_co_u32_e32 v57, vcc, v21, v63, vcc
	v_add_co_u32_e32 v62, vcc, s28, v26
	v_addc_co_u32_e32 v63, vcc, v23, v63, vcc
	global_load_ushort v56, v[56:57], off
	s_nop 0
	global_load_ushort v57, v[62:63], off
	s_waitcnt vmcnt(1)
	v_lshlrev_b32_e32 v63, 16, v56
	s_waitcnt vmcnt(0)
	v_lshlrev_b32_e32 v66, 16, v57
.LBB0_23:                               ;   in Loop: Header=BB0_13 Depth=1
	s_or_b64 exec, exec, s[10:11]
	v_mov_b32_e32 v57, s39
	v_add_co_u32_e32 v56, vcc, s38, v45
	v_addc_co_u32_e32 v57, vcc, v46, v57, vcc
	v_cmp_gt_u64_e64 s[10:11], s[36:37], v[56:57]
	v_mov_b32_e32 v62, 0
	v_mov_b32_e32 v57, 0
	;; [unrolled: 1-line block ×3, first 2 shown]
	s_and_saveexec_b64 s[12:13], s[10:11]
	s_cbranch_execz .LBB0_25
; %bb.24:                               ;   in Loop: Header=BB0_13 Depth=1
	v_mov_b32_e32 v57, s23
	v_add_co_u32_e32 v70, vcc, s22, v14
	v_addc_co_u32_e32 v71, vcc, v11, v57, vcc
	v_add_co_u32_e32 v56, vcc, s22, v12
	v_addc_co_u32_e32 v57, vcc, v9, v57, vcc
	global_load_dword v57, v[56:57], off
	s_nop 0
	global_load_dword v56, v[70:71], off
.LBB0_25:                               ;   in Loop: Header=BB0_13 Depth=1
	s_or_b64 exec, exec, s[12:13]
	v_mov_b32_e32 v64, 0
	s_and_saveexec_b64 s[12:13], s[10:11]
	s_cbranch_execz .LBB0_27
; %bb.26:                               ;   in Loop: Header=BB0_13 Depth=1
	v_mov_b32_e32 v62, s29
	v_add_co_u32_e32 v70, vcc, s28, v16
	v_addc_co_u32_e32 v71, vcc, v13, v62, vcc
	v_add_co_u32_e32 v72, vcc, s28, v18
	v_addc_co_u32_e32 v73, vcc, v15, v62, vcc
	global_load_ushort v62, v[70:71], off
	global_load_ushort v64, v[72:73], off
	s_waitcnt vmcnt(1)
	v_lshlrev_b32_e32 v62, 16, v62
	s_waitcnt vmcnt(0)
	v_lshlrev_b32_e32 v64, 16, v64
.LBB0_27:                               ;   in Loop: Header=BB0_13 Depth=1
	s_or_b64 exec, exec, s[12:13]
	v_cndmask_b32_e64 v69, 0, 1, s[40:41]
	v_cmp_ne_u32_e64 s[12:13], 1, v69
	s_andn2_b64 vcc, exec, s[40:41]
	s_cbranch_vccnz .LBB0_29
; %bb.28:                               ;   in Loop: Header=BB0_13 Depth=1
	global_load_dword v69, v7, s[20:21]
	s_waitcnt vmcnt(0)
	v_div_scale_f32 v70, s[14:15], v69, v69, v53
	v_rcp_f32_e32 v71, v70
	v_div_scale_f32 v72, vcc, v53, v69, v53
	v_fma_f32 v73, -v70, v71, 1.0
	v_fmac_f32_e32 v71, v73, v71
	v_mul_f32_e32 v73, v72, v71
	v_fma_f32 v74, -v70, v73, v72
	v_fmac_f32_e32 v73, v74, v71
	v_fma_f32 v70, -v70, v73, v72
	v_div_fmas_f32 v70, v70, v71, v73
	v_div_fixup_f32 v53, v70, v69, v53
.LBB0_29:                               ;   in Loop: Header=BB0_13 Depth=1
	s_and_b64 vcc, exec, s[12:13]
	s_cbranch_vccnz .LBB0_31
; %bb.30:                               ;   in Loop: Header=BB0_13 Depth=1
	global_load_dword v69, v7, s[20:21]
	s_waitcnt vmcnt(0)
	v_div_scale_f32 v70, s[14:15], v69, v69, v54
	v_rcp_f32_e32 v71, v70
	v_div_scale_f32 v72, vcc, v54, v69, v54
	v_fma_f32 v73, -v70, v71, 1.0
	v_fmac_f32_e32 v71, v73, v71
	v_mul_f32_e32 v73, v72, v71
	v_fma_f32 v74, -v70, v73, v72
	v_fmac_f32_e32 v73, v74, v71
	v_fma_f32 v70, -v70, v73, v72
	v_div_fmas_f32 v70, v70, v71, v73
	v_div_fixup_f32 v54, v70, v69, v54
.LBB0_31:                               ;   in Loop: Header=BB0_13 Depth=1
	s_and_b64 vcc, exec, s[12:13]
	;; [unrolled: 17-line block ×3, first 2 shown]
	s_cbranch_vccnz .LBB0_35
; %bb.34:                               ;   in Loop: Header=BB0_13 Depth=1
	global_load_dword v69, v7, s[20:21]
	s_waitcnt vmcnt(0)
	v_div_scale_f32 v70, s[14:15], v69, v69, v56
	v_rcp_f32_e32 v71, v70
	v_div_scale_f32 v72, vcc, v56, v69, v56
	v_fma_f32 v73, -v70, v71, 1.0
	v_fmac_f32_e32 v71, v73, v71
	v_mul_f32_e32 v73, v72, v71
	v_fma_f32 v74, -v70, v73, v72
	v_fmac_f32_e32 v73, v74, v71
	v_fma_f32 v70, -v70, v73, v72
	v_div_fmas_f32 v70, v70, v71, v73
	v_div_fixup_f32 v56, v70, v69, v56
.LBB0_35:                               ;   in Loop: Header=BB0_13 Depth=1
	s_waitcnt vmcnt(0)
	v_cndmask_b32_e64 v69, v53, -v53, s[34:35]
	v_fma_f32 v70, v60, v41, v69
	v_cndmask_b32_e64 v70, v69, v70, s[0:1]
	v_fma_f32 v69, -v39, v70, v70
	v_fmac_f32_e32 v69, v39, v61
	v_mul_f32_e32 v61, v70, v70
	v_fma_f32 v61, -v40, v61, v61
	v_fmac_f32_e32 v61, v40, v68
	s_and_saveexec_b64 s[24:25], s[2:3]
	s_cbranch_execz .LBB0_37
; %bb.36:                               ;   in Loop: Header=BB0_13 Depth=1
	v_mul_f32_e32 v68, 0x4f800000, v61
	v_cmp_gt_f32_e32 vcc, s51, v61
	v_cndmask_b32_e32 v68, v61, v68, vcc
	v_sqrt_f32_e32 v70, v68
	v_add_u32_e32 v71, -1, v70
	v_fma_f32 v73, -v71, v70, v68
	v_add_u32_e32 v72, 1, v70
	v_cmp_ge_f32_e64 s[14:15], 0, v73
	v_cndmask_b32_e64 v71, v70, v71, s[14:15]
	v_fma_f32 v70, -v72, v70, v68
	v_cmp_lt_f32_e64 s[14:15], 0, v70
	v_cndmask_b32_e64 v70, v71, v72, s[14:15]
	v_mul_f32_e32 v71, 0x37800000, v70
	v_cndmask_b32_e32 v70, v70, v71, vcc
	v_cmp_class_f32_e32 vcc, v68, v51
	v_cndmask_b32_e32 v68, v70, v68, vcc
	v_div_scale_f32 v70, s[14:15], v43, v43, v68
	v_rcp_f32_e32 v71, v70
	v_fma_f32 v72, -v70, v71, 1.0
	v_fmac_f32_e32 v71, v72, v71
	v_div_scale_f32 v72, vcc, v68, v43, v68
	v_mul_f32_e32 v73, v72, v71
	v_fma_f32 v74, -v70, v73, v72
	v_fmac_f32_e32 v73, v74, v71
	v_fma_f32 v70, -v70, v73, v72
	v_div_fmas_f32 v70, v70, v71, v73
	v_div_fixup_f32 v68, v70, v43, v68
	v_add_f32_e32 v68, v68, v42
	v_mul_f32_e32 v70, v44, v69
	v_div_scale_f32 v71, s[14:15], v68, v68, v70
	v_rcp_f32_e32 v72, v71
	v_fma_f32 v73, -v71, v72, 1.0
	v_fmac_f32_e32 v72, v73, v72
	v_div_scale_f32 v73, vcc, v70, v68, v70
	v_mul_f32_e32 v74, v73, v72
	v_fma_f32 v75, -v71, v74, v73
	v_fmac_f32_e32 v74, v75, v72
	v_fma_f32 v71, -v71, v74, v73
	v_div_fmas_f32 v71, v71, v72, v74
	v_div_fixup_f32 v68, v71, v68, v70
	v_sub_f32_e32 v60, v60, v68
	v_mov_b32_e32 v68, s23
	v_add_co_u32_e32 v70, vcc, s22, v8
	v_addc_co_u32_e32 v71, vcc, v1, v68, vcc
	global_store_dword v[70:71], v60, off
.LBB0_37:                               ;   in Loop: Header=BB0_13 Depth=1
	s_or_b64 exec, exec, s[24:25]
	v_cndmask_b32_e64 v60, v54, -v54, s[34:35]
	v_fma_f32 v68, v59, v41, v60
	v_cndmask_b32_e64 v60, v60, v68, s[0:1]
	v_fma_f32 v68, -v39, v60, v60
	v_mul_f32_e32 v60, v60, v60
	v_fma_f32 v60, -v40, v60, v60
	v_fmac_f32_e32 v68, v39, v65
	v_fmac_f32_e32 v60, v40, v67
	s_and_saveexec_b64 s[24:25], s[6:7]
	s_cbranch_execz .LBB0_39
; %bb.38:                               ;   in Loop: Header=BB0_13 Depth=1
	v_mul_f32_e32 v65, 0x4f800000, v60
	v_cmp_gt_f32_e32 vcc, s51, v60
	v_cndmask_b32_e32 v65, v60, v65, vcc
	v_sqrt_f32_e32 v67, v65
	v_add_u32_e32 v70, -1, v67
	v_fma_f32 v72, -v70, v67, v65
	v_add_u32_e32 v71, 1, v67
	v_cmp_ge_f32_e64 s[14:15], 0, v72
	v_cndmask_b32_e64 v70, v67, v70, s[14:15]
	v_fma_f32 v67, -v71, v67, v65
	v_cmp_lt_f32_e64 s[14:15], 0, v67
	v_cndmask_b32_e64 v67, v70, v71, s[14:15]
	v_mul_f32_e32 v70, 0x37800000, v67
	v_cndmask_b32_e32 v67, v67, v70, vcc
	v_cmp_class_f32_e32 vcc, v65, v51
	v_cndmask_b32_e32 v65, v67, v65, vcc
	v_div_scale_f32 v67, s[14:15], v43, v43, v65
	v_rcp_f32_e32 v70, v67
	v_fma_f32 v71, -v67, v70, 1.0
	v_fmac_f32_e32 v70, v71, v70
	v_div_scale_f32 v71, vcc, v65, v43, v65
	v_mul_f32_e32 v72, v71, v70
	v_fma_f32 v73, -v67, v72, v71
	v_fmac_f32_e32 v72, v73, v70
	v_fma_f32 v67, -v67, v72, v71
	v_div_fmas_f32 v67, v67, v70, v72
	v_div_fixup_f32 v65, v67, v43, v65
	v_add_f32_e32 v65, v65, v42
	v_mul_f32_e32 v67, v44, v68
	v_div_scale_f32 v70, s[14:15], v65, v65, v67
	v_rcp_f32_e32 v71, v70
	v_fma_f32 v72, -v70, v71, 1.0
	v_fmac_f32_e32 v71, v72, v71
	v_div_scale_f32 v72, vcc, v67, v65, v67
	v_mul_f32_e32 v73, v72, v71
	v_fma_f32 v74, -v70, v73, v72
	v_fmac_f32_e32 v73, v74, v71
	v_fma_f32 v70, -v70, v73, v72
	v_div_fmas_f32 v70, v70, v71, v73
	v_div_fixup_f32 v65, v70, v65, v67
	v_sub_f32_e32 v59, v59, v65
	v_mov_b32_e32 v65, s23
	v_add_co_u32_e32 v70, vcc, s22, v28
	v_addc_co_u32_e32 v71, vcc, v25, v65, vcc
	global_store_dword v[70:71], v59, off
.LBB0_39:                               ;   in Loop: Header=BB0_13 Depth=1
	s_or_b64 exec, exec, s[24:25]
	v_cndmask_b32_e64 v59, v55, -v55, s[34:35]
	v_fma_f32 v65, v58, v41, v59
	v_cndmask_b32_e64 v59, v59, v65, s[0:1]
	v_fma_f32 v65, -v39, v59, v59
	v_mul_f32_e32 v59, v59, v59
	v_fma_f32 v59, -v40, v59, v59
	v_fmac_f32_e32 v65, v39, v63
	;; [unrolled: 58-line block ×3, first 2 shown]
	v_fmac_f32_e32 v58, v40, v64
	s_and_saveexec_b64 s[24:25], s[10:11]
	s_cbranch_execnz .LBB0_51
; %bb.42:                               ;   in Loop: Header=BB0_13 Depth=1
	s_or_b64 exec, exec, s[24:25]
	s_and_saveexec_b64 s[14:15], s[2:3]
	s_cbranch_execnz .LBB0_52
.LBB0_43:                               ;   in Loop: Header=BB0_13 Depth=1
	s_or_b64 exec, exec, s[14:15]
	s_and_saveexec_b64 s[14:15], s[6:7]
	s_cbranch_execnz .LBB0_53
.LBB0_44:                               ;   in Loop: Header=BB0_13 Depth=1
	s_or_b64 exec, exec, s[14:15]
	s_and_saveexec_b64 s[14:15], s[8:9]
	s_cbranch_execnz .LBB0_54
.LBB0_45:                               ;   in Loop: Header=BB0_13 Depth=1
	s_or_b64 exec, exec, s[14:15]
	s_and_saveexec_b64 s[14:15], s[10:11]
	s_cbranch_execnz .LBB0_55
.LBB0_46:                               ;   in Loop: Header=BB0_13 Depth=1
	s_or_b64 exec, exec, s[14:15]
	s_and_saveexec_b64 s[14:15], s[2:3]
	s_cbranch_execnz .LBB0_56
.LBB0_47:                               ;   in Loop: Header=BB0_13 Depth=1
	s_or_b64 exec, exec, s[14:15]
	s_and_saveexec_b64 s[14:15], s[6:7]
	s_cbranch_execnz .LBB0_57
.LBB0_48:                               ;   in Loop: Header=BB0_13 Depth=1
	s_or_b64 exec, exec, s[14:15]
	s_and_saveexec_b64 s[14:15], s[8:9]
	s_cbranch_execnz .LBB0_58
.LBB0_49:                               ;   in Loop: Header=BB0_13 Depth=1
	s_or_b64 exec, exec, s[14:15]
	s_and_saveexec_b64 s[14:15], s[10:11]
	s_cbranch_execnz .LBB0_59
.LBB0_50:                               ;   in Loop: Header=BB0_13 Depth=1
	s_or_b64 exec, exec, s[14:15]
	s_and_b64 vcc, exec, s[12:13]
	s_cbranch_vccz .LBB0_60
	s_branch .LBB0_12
.LBB0_51:                               ;   in Loop: Header=BB0_13 Depth=1
	v_mul_f32_e32 v62, 0x4f800000, v58
	v_cmp_gt_f32_e32 vcc, s51, v58
	v_cndmask_b32_e32 v62, v58, v62, vcc
	v_sqrt_f32_e32 v64, v62
	v_add_u32_e32 v66, -1, v64
	v_fma_f32 v70, -v66, v64, v62
	v_add_u32_e32 v67, 1, v64
	v_cmp_ge_f32_e64 s[14:15], 0, v70
	v_cndmask_b32_e64 v66, v64, v66, s[14:15]
	v_fma_f32 v64, -v67, v64, v62
	v_cmp_lt_f32_e64 s[14:15], 0, v64
	v_cndmask_b32_e64 v64, v66, v67, s[14:15]
	v_mul_f32_e32 v66, 0x37800000, v64
	v_cndmask_b32_e32 v64, v64, v66, vcc
	v_cmp_class_f32_e32 vcc, v62, v51
	v_cndmask_b32_e32 v62, v64, v62, vcc
	v_div_scale_f32 v64, s[14:15], v43, v43, v62
	v_rcp_f32_e32 v66, v64
	v_fma_f32 v67, -v64, v66, 1.0
	v_fmac_f32_e32 v66, v67, v66
	v_div_scale_f32 v67, vcc, v62, v43, v62
	v_mul_f32_e32 v70, v67, v66
	v_fma_f32 v71, -v64, v70, v67
	v_fmac_f32_e32 v70, v71, v66
	v_fma_f32 v64, -v64, v70, v67
	v_div_fmas_f32 v64, v64, v66, v70
	v_div_fixup_f32 v62, v64, v43, v62
	v_add_f32_e32 v62, v62, v42
	v_mul_f32_e32 v64, v44, v63
	v_div_scale_f32 v66, s[14:15], v62, v62, v64
	v_rcp_f32_e32 v67, v66
	v_fma_f32 v70, -v66, v67, 1.0
	v_fmac_f32_e32 v67, v70, v67
	v_div_scale_f32 v70, vcc, v64, v62, v64
	v_mul_f32_e32 v71, v70, v67
	v_fma_f32 v72, -v66, v71, v70
	v_fmac_f32_e32 v71, v72, v67
	v_fma_f32 v66, -v66, v71, v70
	v_div_fmas_f32 v66, v66, v67, v71
	v_div_fixup_f32 v62, v66, v62, v64
	v_sub_f32_e32 v57, v57, v62
	v_mov_b32_e32 v62, s23
	v_add_co_u32_e32 v66, vcc, s22, v12
	v_addc_co_u32_e32 v67, vcc, v9, v62, vcc
	global_store_dword v[66:67], v57, off
	s_or_b64 exec, exec, s[24:25]
	s_and_saveexec_b64 s[14:15], s[2:3]
	s_cbranch_execz .LBB0_43
.LBB0_52:                               ;   in Loop: Header=BB0_13 Depth=1
	v_bfe_u32 v57, v69, 16, 1
	v_add3_u32 v57, v69, v57, s53
	v_lshrrev_b32_e32 v57, 16, v57
	v_cmp_o_f32_e32 vcc, v69, v69
	v_cndmask_b32_e32 v57, v52, v57, vcc
	v_mov_b32_e32 v62, s29
	v_add_co_u32_e32 v66, vcc, s28, v32
	v_addc_co_u32_e32 v67, vcc, v31, v62, vcc
	global_store_short v[66:67], v57, off
	s_or_b64 exec, exec, s[14:15]
	s_and_saveexec_b64 s[14:15], s[6:7]
	s_cbranch_execz .LBB0_44
.LBB0_53:                               ;   in Loop: Header=BB0_13 Depth=1
	v_bfe_u32 v57, v68, 16, 1
	v_add3_u32 v57, v68, v57, s53
	v_lshrrev_b32_e32 v57, 16, v57
	v_cmp_o_f32_e32 vcc, v68, v68
	v_cndmask_b32_e32 v57, v52, v57, vcc
	v_mov_b32_e32 v62, s29
	v_add_co_u32_e32 v66, vcc, s28, v34
	v_addc_co_u32_e32 v67, vcc, v33, v62, vcc
	global_store_short v[66:67], v57, off
	s_or_b64 exec, exec, s[14:15]
	s_and_saveexec_b64 s[14:15], s[8:9]
	s_cbranch_execz .LBB0_45
.LBB0_54:                               ;   in Loop: Header=BB0_13 Depth=1
	v_bfe_u32 v57, v65, 16, 1
	v_add3_u32 v57, v65, v57, s53
	v_lshrrev_b32_e32 v57, 16, v57
	v_cmp_o_f32_e32 vcc, v65, v65
	v_cndmask_b32_e32 v57, v52, v57, vcc
	v_mov_b32_e32 v62, s29
	v_add_co_u32_e32 v64, vcc, s28, v24
	v_addc_co_u32_e32 v65, vcc, v21, v62, vcc
	global_store_short v[64:65], v57, off
	s_or_b64 exec, exec, s[14:15]
	s_and_saveexec_b64 s[14:15], s[10:11]
	s_cbranch_execz .LBB0_46
.LBB0_55:                               ;   in Loop: Header=BB0_13 Depth=1
	v_bfe_u32 v57, v63, 16, 1
	v_add3_u32 v57, v63, v57, s53
	v_lshrrev_b32_e32 v57, 16, v57
	v_cmp_o_f32_e32 vcc, v63, v63
	v_cndmask_b32_e32 v57, v52, v57, vcc
	v_mov_b32_e32 v63, s29
	v_add_co_u32_e32 v62, vcc, s28, v16
	v_addc_co_u32_e32 v63, vcc, v13, v63, vcc
	global_store_short v[62:63], v57, off
	s_or_b64 exec, exec, s[14:15]
	s_and_saveexec_b64 s[14:15], s[2:3]
	s_cbranch_execz .LBB0_47
.LBB0_56:                               ;   in Loop: Header=BB0_13 Depth=1
	v_bfe_u32 v57, v61, 16, 1
	v_add3_u32 v57, v61, v57, s53
	v_lshrrev_b32_e32 v57, 16, v57
	v_cmp_o_f32_e32 vcc, v61, v61
	v_cndmask_b32_e32 v57, v52, v57, vcc
	v_mov_b32_e32 v61, s29
	v_add_co_u32_e32 v62, vcc, s28, v10
	v_addc_co_u32_e32 v63, vcc, v35, v61, vcc
	global_store_short v[62:63], v57, off
	s_or_b64 exec, exec, s[14:15]
	s_and_saveexec_b64 s[14:15], s[6:7]
	s_cbranch_execz .LBB0_48
.LBB0_57:                               ;   in Loop: Header=BB0_13 Depth=1
	v_bfe_u32 v57, v60, 16, 1
	v_add3_u32 v57, v60, v57, s53
	v_lshrrev_b32_e32 v57, 16, v57
	v_cmp_o_f32_e32 vcc, v60, v60
	v_cndmask_b32_e32 v57, v52, v57, vcc
	v_mov_b32_e32 v61, s29
	v_add_co_u32_e32 v60, vcc, s28, v36
	v_addc_co_u32_e32 v61, vcc, v37, v61, vcc
	global_store_short v[60:61], v57, off
	s_or_b64 exec, exec, s[14:15]
	s_and_saveexec_b64 s[14:15], s[8:9]
	s_cbranch_execz .LBB0_49
.LBB0_58:                               ;   in Loop: Header=BB0_13 Depth=1
	v_bfe_u32 v57, v59, 16, 1
	v_add3_u32 v57, v59, v57, s53
	v_lshrrev_b32_e32 v57, 16, v57
	v_cmp_o_f32_e32 vcc, v59, v59
	v_cndmask_b32_e32 v57, v52, v57, vcc
	v_mov_b32_e32 v59, s29
	v_add_co_u32_e32 v60, vcc, s28, v26
	v_addc_co_u32_e32 v61, vcc, v23, v59, vcc
	global_store_short v[60:61], v57, off
	s_or_b64 exec, exec, s[14:15]
	s_and_saveexec_b64 s[14:15], s[10:11]
	s_cbranch_execz .LBB0_50
.LBB0_59:                               ;   in Loop: Header=BB0_13 Depth=1
	v_bfe_u32 v57, v58, 16, 1
	v_add3_u32 v57, v58, v57, s53
	v_lshrrev_b32_e32 v57, 16, v57
	v_cmp_o_f32_e32 vcc, v58, v58
	v_cndmask_b32_e32 v57, v52, v57, vcc
	v_mov_b32_e32 v59, s29
	v_add_co_u32_e32 v58, vcc, s28, v18
	v_addc_co_u32_e32 v59, vcc, v15, v59, vcc
	global_store_short v[58:59], v57, off
	s_or_b64 exec, exec, s[14:15]
	s_and_b64 vcc, exec, s[12:13]
	s_cbranch_vccnz .LBB0_12
.LBB0_60:                               ;   in Loop: Header=BB0_13 Depth=1
	s_and_saveexec_b64 s[12:13], s[2:3]
	s_cbranch_execnz .LBB0_64
; %bb.61:                               ;   in Loop: Header=BB0_13 Depth=1
	s_or_b64 exec, exec, s[12:13]
	s_and_saveexec_b64 s[2:3], s[6:7]
	s_cbranch_execnz .LBB0_65
.LBB0_62:                               ;   in Loop: Header=BB0_13 Depth=1
	s_or_b64 exec, exec, s[2:3]
	s_and_saveexec_b64 s[2:3], s[8:9]
	s_cbranch_execnz .LBB0_66
.LBB0_63:                               ;   in Loop: Header=BB0_13 Depth=1
	s_or_b64 exec, exec, s[2:3]
	s_and_saveexec_b64 s[2:3], s[10:11]
	s_cbranch_execz .LBB0_11
	s_branch .LBB0_67
.LBB0_64:                               ;   in Loop: Header=BB0_13 Depth=1
	v_mov_b32_e32 v57, s23
	v_add_co_u32_e32 v58, vcc, s22, v6
	v_addc_co_u32_e32 v59, vcc, v27, v57, vcc
	global_store_dword v[58:59], v53, off
	s_or_b64 exec, exec, s[12:13]
	s_and_saveexec_b64 s[2:3], s[6:7]
	s_cbranch_execz .LBB0_62
.LBB0_65:                               ;   in Loop: Header=BB0_13 Depth=1
	v_mov_b32_e32 v53, s23
	v_add_co_u32_e32 v58, vcc, s22, v30
	v_addc_co_u32_e32 v59, vcc, v29, v53, vcc
	global_store_dword v[58:59], v54, off
	s_or_b64 exec, exec, s[2:3]
	s_and_saveexec_b64 s[2:3], s[8:9]
	s_cbranch_execz .LBB0_63
.LBB0_66:                               ;   in Loop: Header=BB0_13 Depth=1
	v_mov_b32_e32 v53, s23
	v_add_co_u32_e32 v58, vcc, s22, v22
	v_addc_co_u32_e32 v59, vcc, v19, v53, vcc
	global_store_dword v[58:59], v55, off
	s_or_b64 exec, exec, s[2:3]
	s_and_saveexec_b64 s[2:3], s[10:11]
	s_cbranch_execz .LBB0_11
.LBB0_67:                               ;   in Loop: Header=BB0_13 Depth=1
	v_mov_b32_e32 v53, s23
	v_add_co_u32_e32 v54, vcc, s22, v14
	v_addc_co_u32_e32 v55, vcc, v11, v53, vcc
	global_store_dword v[54:55], v56, off
	s_branch .LBB0_11
.LBB0_68:
                                        ; implicit-def: $sgpr7
	v_mov_b32_e32 v38, s7
	s_branch .LBB0_2
.LBB0_69:
	s_mov_b64 s[0:1], 0
.LBB0_70:
	s_andn2_b64 vcc, exec, s[0:1]
	s_cbranch_vccnz .LBB0_84
; %bb.71:
	v_mov_b32_e32 v9, 0
	v_lshlrev_b32_e32 v8, 2, v0
	s_mov_b32 s10, 0
	v_cmp_gt_i64_e32 vcc, s[30:31], v[8:9]
	s_and_saveexec_b64 s[0:1], vcc
	s_cbranch_execz .LBB0_84
; %bb.72:
	v_cvt_f32_f64_e32 v1, v[2:3]
	v_div_scale_f32 v2, s[0:1], v1, v1, v38
	v_rcp_f32_e32 v3, v2
	v_cvt_f32_f64_e32 v11, v[4:5]
	s_load_dword s0, s[4:5], 0xd64
	s_cmp_lg_u64 s[20:21], 0
	v_fma_f32 v4, -v2, v3, 1.0
	v_fmac_f32_e32 v3, v4, v3
	v_div_scale_f32 v4, vcc, v38, v1, v38
	v_mul_f32_e32 v5, v4, v3
	v_fma_f32 v6, -v2, v5, v4
	v_fmac_f32_e32 v5, v6, v3
	v_readlane_b32 s12, v76, 0
	v_fma_f32 v2, -v2, v5, v4
	s_cselect_b64 s[2:3], -1, 0
	s_waitcnt lgkmcnt(0)
	s_and_b32 s4, s0, 0xffff
	v_readlane_b32 s13, v76, 1
	v_div_fmas_f32 v2, v2, v3, v5
	v_readlane_b32 s14, v76, 2
	v_readlane_b32 s15, v76, 3
	v_cvt_f32_f64_e32 v30, s[12:13]
	v_lshlrev_b32_e32 v10, 3, v0
	v_add_lshl_u32 v8, v0, s4, 2
	v_lshlrev_b32_e32 v12, 4, v0
	v_cndmask_b32_e64 v0, 0, 1, s[2:3]
	s_mov_b64 s[6:7], 0
	v_div_fixup_f32 v13, v2, v1, v38
	v_cvt_f32_f64_e32 v28, s[16:17]
	v_cvt_f32_f64_e32 v29, s[18:19]
	;; [unrolled: 1-line block ×3, first 2 shown]
	v_cmp_neq_f32_e64 s[0:1], 0, v30
	s_lshl_b32 s11, s4, 3
	s_lshl_b32 s12, s4, 2
	;; [unrolled: 1-line block ×3, first 2 shown]
	v_cmp_ne_u32_e64 s[2:3], 1, v0
	s_mov_b32 s14, 0xf800000
	v_mov_b32_e32 v32, 0x260
	s_movk_i32 s15, 0x7fff
	s_mov_b64 s[8:9], 0xffff
	v_mov_b32_e32 v33, 0x7fc00000
	v_mov_b32_e32 v34, 0x7fc0
	v_pk_mov_b32 v[14:15], v[8:9], v[8:9] op_sel:[0,1]
	s_branch .LBB0_74
.LBB0_73:                               ;   in Loop: Header=BB0_74 Depth=1
	v_cmp_le_i64_e32 vcc, s[30:31], v[14:15]
	v_cmp_lt_u64_e64 s[4:5], s[8:9], v[14:15]
	s_or_b64 s[4:5], vcc, s[4:5]
	s_add_u32 s47, s47, s11
	s_addc_u32 s48, s48, 0
	s_add_u32 s49, s49, s11
	s_addc_u32 s52, s52, 0
	;; [unrolled: 2-line block ×4, first 2 shown]
	v_mov_b32_e32 v0, s10
	s_and_b64 s[4:5], exec, s[4:5]
	v_add_co_u32_e32 v14, vcc, s12, v14
	s_or_b64 s[6:7], s[4:5], s[6:7]
	v_addc_co_u32_e32 v15, vcc, v15, v0, vcc
	s_andn2_b64 exec, exec, s[6:7]
	s_cbranch_execz .LBB0_84
.LBB0_74:                               ; =>This Inner Loop Header: Depth=1
	v_mov_b32_e32 v0, s44
	v_add_co_u32_e32 v22, vcc, s33, v12
	v_addc_co_u32_e32 v23, vcc, 0, v0, vcc
	v_mov_b32_e32 v0, s46
	v_add_co_u32_e32 v16, vcc, s45, v12
	v_addc_co_u32_e32 v17, vcc, 0, v0, vcc
	;; [unrolled: 3-line block ×4, first 2 shown]
	global_load_dwordx4 v[4:7], v[22:23], off
	global_load_dwordx4 v[0:3], v[16:17], off
	global_load_dwordx2 v[24:25], v[20:21], off
	global_load_dwordx2 v[26:27], v[18:19], off
	s_and_b64 vcc, exec, s[2:3]
	s_cbranch_vccnz .LBB0_76
; %bb.75:                               ;   in Loop: Header=BB0_74 Depth=1
	global_load_dword v8, v9, s[20:21]
	s_waitcnt vmcnt(0)
	v_div_scale_f32 v35, s[4:5], v8, v8, v0
	v_rcp_f32_e32 v36, v35
	v_div_scale_f32 v37, vcc, v0, v8, v0
	v_fma_f32 v38, -v35, v36, 1.0
	v_fmac_f32_e32 v36, v38, v36
	v_mul_f32_e32 v38, v37, v36
	v_fma_f32 v39, -v35, v38, v37
	v_fmac_f32_e32 v38, v39, v36
	v_fma_f32 v35, -v35, v38, v37
	v_div_fmas_f32 v35, v35, v36, v38
	v_div_fixup_f32 v0, v35, v8, v0
.LBB0_76:                               ;   in Loop: Header=BB0_74 Depth=1
	s_and_b64 vcc, exec, s[2:3]
	s_cbranch_vccnz .LBB0_78
; %bb.77:                               ;   in Loop: Header=BB0_74 Depth=1
	global_load_dword v8, v9, s[20:21]
	s_waitcnt vmcnt(0)
	v_div_scale_f32 v35, s[4:5], v8, v8, v1
	v_rcp_f32_e32 v36, v35
	v_div_scale_f32 v37, vcc, v1, v8, v1
	v_fma_f32 v38, -v35, v36, 1.0
	v_fmac_f32_e32 v36, v38, v36
	v_mul_f32_e32 v38, v37, v36
	v_fma_f32 v39, -v35, v38, v37
	v_fmac_f32_e32 v38, v39, v36
	v_fma_f32 v35, -v35, v38, v37
	v_div_fmas_f32 v35, v35, v36, v38
	v_div_fixup_f32 v1, v35, v8, v1
.LBB0_78:                               ;   in Loop: Header=BB0_74 Depth=1
	;; [unrolled: 17-line block ×4, first 2 shown]
	s_waitcnt vmcnt(2)
	v_cndmask_b32_e64 v35, v2, -v2, s[34:35]
	v_fma_f32 v36, v6, v30, v35
	v_cndmask_b32_e64 v35, v35, v36, s[0:1]
	v_mul_f32_e32 v36, v35, v35
	s_waitcnt vmcnt(0)
	v_lshlrev_b32_e32 v8, 16, v27
	v_fma_f32 v36, -v29, v36, v36
	v_fmac_f32_e32 v36, v29, v8
	v_mul_f32_e32 v8, 0x4f800000, v36
	v_cmp_gt_f32_e32 vcc, s14, v36
	v_cndmask_b32_e32 v8, v36, v8, vcc
	v_sqrt_f32_e32 v37, v8
	v_fma_f32 v35, -v28, v35, v35
	v_cndmask_b32_e64 v43, v1, -v1, s[34:35]
	v_fma_f32 v44, v5, v30, v43
	v_add_u32_e32 v38, -1, v37
	v_fma_f32 v39, -v38, v37, v8
	v_cmp_ge_f32_e64 s[4:5], 0, v39
	v_add_u32_e32 v39, 1, v37
	v_cndmask_b32_e64 v38, v37, v38, s[4:5]
	v_fma_f32 v37, -v39, v37, v8
	v_cmp_lt_f32_e64 s[4:5], 0, v37
	v_cndmask_b32_e64 v37, v38, v39, s[4:5]
	v_mul_f32_e32 v38, 0x37800000, v37
	v_cndmask_b32_e32 v37, v37, v38, vcc
	v_cmp_class_f32_e32 vcc, v8, v32
	v_cndmask_b32_e32 v8, v37, v8, vcc
	v_div_scale_f32 v37, s[4:5], v11, v11, v8
	v_rcp_f32_e32 v38, v37
	v_lshlrev_b32_e32 v39, 16, v25
	v_fmac_f32_e32 v35, v28, v39
	v_cndmask_b32_e64 v43, v43, v44, s[0:1]
	v_fma_f32 v39, -v37, v38, 1.0
	v_fmac_f32_e32 v38, v39, v38
	v_div_scale_f32 v39, vcc, v8, v11, v8
	v_mul_f32_e32 v40, v39, v38
	v_fma_f32 v41, -v37, v40, v39
	v_fmac_f32_e32 v40, v41, v38
	v_fma_f32 v37, -v37, v40, v39
	v_div_fmas_f32 v37, v37, v38, v40
	v_div_fixup_f32 v8, v37, v11, v8
	v_add_f32_e32 v8, v8, v31
	v_mul_f32_e32 v37, v13, v35
	v_div_scale_f32 v38, s[4:5], v8, v8, v37
	v_rcp_f32_e32 v39, v38
	v_mul_f32_e32 v44, v43, v43
	v_fma_f32 v44, -v29, v44, v44
	v_fma_f32 v43, -v28, v43, v43
	v_fma_f32 v40, -v38, v39, 1.0
	v_fmac_f32_e32 v39, v40, v39
	v_div_scale_f32 v40, vcc, v37, v8, v37
	v_mul_f32_e32 v41, v40, v39
	v_fma_f32 v42, -v38, v41, v40
	v_fmac_f32_e32 v41, v42, v39
	v_and_b32_e32 v42, 0xffff0000, v26
	v_fmac_f32_e32 v44, v29, v42
	v_mul_f32_e32 v42, 0x4f800000, v44
	v_cmp_gt_f32_e64 s[4:5], s14, v44
	v_cndmask_b32_e64 v42, v44, v42, s[4:5]
	v_sqrt_f32_e32 v45, v42
	v_fma_f32 v38, -v38, v41, v40
	v_div_fmas_f32 v38, v38, v39, v41
	v_lshlrev_b32_e32 v26, 16, v26
	v_add_u32_e32 v39, -1, v45
	v_fma_f32 v40, -v39, v45, v42
	v_cmp_ge_f32_e32 vcc, 0, v40
	v_add_u32_e32 v40, 1, v45
	v_fma_f32 v41, -v40, v45, v42
	v_cndmask_b32_e32 v39, v45, v39, vcc
	v_cmp_lt_f32_e32 vcc, 0, v41
	v_cndmask_b32_e32 v39, v39, v40, vcc
	v_mul_f32_e32 v40, 0x37800000, v39
	v_cndmask_b32_e64 v39, v39, v40, s[4:5]
	v_cmp_class_f32_e32 vcc, v42, v32
	v_cndmask_b32_e32 v39, v39, v42, vcc
	v_div_scale_f32 v40, s[4:5], v11, v11, v39
	v_rcp_f32_e32 v41, v40
	v_and_b32_e32 v42, 0xffff0000, v24
	v_fmac_f32_e32 v43, v28, v42
	v_lshlrev_b32_e32 v24, 16, v24
	v_fma_f32 v42, -v40, v41, 1.0
	v_fmac_f32_e32 v41, v42, v41
	v_div_scale_f32 v42, vcc, v39, v11, v39
	v_mul_f32_e32 v45, v42, v41
	v_fma_f32 v46, -v40, v45, v42
	v_fmac_f32_e32 v45, v46, v41
	v_fma_f32 v40, -v40, v45, v42
	v_div_fmas_f32 v40, v40, v41, v45
	v_div_fixup_f32 v39, v40, v11, v39
	v_add_f32_e32 v39, v39, v31
	v_mul_f32_e32 v40, v13, v43
	v_div_scale_f32 v41, s[4:5], v39, v39, v40
	v_rcp_f32_e32 v42, v41
	v_div_fixup_f32 v8, v38, v8, v37
	v_sub_f32_e32 v6, v6, v8
	v_and_b32_e32 v27, 0xffff0000, v27
	v_fma_f32 v45, -v41, v42, 1.0
	v_fmac_f32_e32 v42, v45, v42
	v_div_scale_f32 v45, vcc, v40, v39, v40
	v_mul_f32_e32 v46, v45, v42
	v_fma_f32 v47, -v41, v46, v45
	v_fmac_f32_e32 v46, v47, v42
	v_cndmask_b32_e64 v47, v0, -v0, s[34:35]
	v_fma_f32 v48, v4, v30, v47
	v_cndmask_b32_e64 v47, v47, v48, s[0:1]
	v_mul_f32_e32 v48, v47, v47
	v_fma_f32 v48, -v29, v48, v48
	v_fmac_f32_e32 v48, v29, v26
	v_mul_f32_e32 v26, 0x4f800000, v48
	v_cmp_gt_f32_e64 s[4:5], s14, v48
	v_cndmask_b32_e64 v26, v48, v26, s[4:5]
	v_sqrt_f32_e32 v49, v26
	v_fma_f32 v41, -v41, v46, v45
	v_div_fmas_f32 v41, v41, v42, v46
	v_div_fixup_f32 v8, v41, v39, v40
	v_add_u32_e32 v42, -1, v49
	v_fma_f32 v45, -v42, v49, v26
	v_cmp_ge_f32_e32 vcc, 0, v45
	v_add_u32_e32 v45, 1, v49
	v_fma_f32 v46, -v45, v49, v26
	v_cndmask_b32_e32 v42, v49, v42, vcc
	v_cmp_lt_f32_e32 vcc, 0, v46
	v_cndmask_b32_e32 v42, v42, v45, vcc
	v_mul_f32_e32 v45, 0x37800000, v42
	v_cndmask_b32_e64 v42, v42, v45, s[4:5]
	v_cmp_class_f32_e32 vcc, v26, v32
	v_cndmask_b32_e32 v26, v42, v26, vcc
	v_div_scale_f32 v42, s[4:5], v11, v11, v26
	v_rcp_f32_e32 v45, v42
	v_fma_f32 v46, -v28, v47, v47
	v_fmac_f32_e32 v46, v28, v24
	v_and_b32_e32 v25, 0xffff0000, v25
	v_fma_f32 v24, -v42, v45, 1.0
	v_fmac_f32_e32 v45, v24, v45
	v_div_scale_f32 v24, vcc, v26, v11, v26
	v_mul_f32_e32 v47, v24, v45
	v_fma_f32 v49, -v42, v47, v24
	v_fmac_f32_e32 v47, v49, v45
	v_fma_f32 v24, -v42, v47, v24
	v_div_fmas_f32 v24, v24, v45, v47
	v_div_fixup_f32 v24, v24, v11, v26
	v_add_f32_e32 v24, v24, v31
	v_mul_f32_e32 v26, v13, v46
	v_div_scale_f32 v42, s[4:5], v24, v24, v26
	v_rcp_f32_e32 v45, v42
	v_sub_f32_e32 v5, v5, v8
	v_fma_f32 v37, -v42, v45, 1.0
	v_fmac_f32_e32 v45, v37, v45
	v_div_scale_f32 v37, vcc, v26, v24, v26
	v_mul_f32_e32 v38, v37, v45
	v_fma_f32 v39, -v42, v38, v37
	v_fmac_f32_e32 v38, v39, v45
	v_cndmask_b32_e64 v39, v3, -v3, s[34:35]
	v_fma_f32 v40, v7, v30, v39
	v_cndmask_b32_e64 v39, v39, v40, s[0:1]
	v_mul_f32_e32 v40, v39, v39
	v_fma_f32 v40, -v29, v40, v40
	v_fmac_f32_e32 v40, v29, v27
	v_mul_f32_e32 v27, 0x4f800000, v40
	v_cmp_gt_f32_e64 s[4:5], s14, v40
	v_cndmask_b32_e64 v27, v40, v27, s[4:5]
	v_sqrt_f32_e32 v41, v27
	v_fma_f32 v37, -v42, v38, v37
	v_div_fmas_f32 v37, v37, v45, v38
	v_fma_f32 v39, -v28, v39, v39
	v_add_u32_e32 v38, -1, v41
	v_fma_f32 v42, -v38, v41, v27
	v_cmp_ge_f32_e32 vcc, 0, v42
	v_add_u32_e32 v42, 1, v41
	v_cndmask_b32_e32 v38, v41, v38, vcc
	v_fma_f32 v41, -v42, v41, v27
	v_cmp_lt_f32_e32 vcc, 0, v41
	v_cndmask_b32_e32 v38, v38, v42, vcc
	v_mul_f32_e32 v41, 0x37800000, v38
	v_cndmask_b32_e64 v38, v38, v41, s[4:5]
	v_cmp_class_f32_e32 vcc, v27, v32
	v_cndmask_b32_e32 v27, v38, v27, vcc
	v_div_scale_f32 v38, s[4:5], v11, v11, v27
	v_rcp_f32_e32 v41, v38
	v_fmac_f32_e32 v39, v28, v25
	v_div_fixup_f32 v8, v37, v24, v26
	v_sub_f32_e32 v4, v4, v8
	v_fma_f32 v25, -v38, v41, 1.0
	v_fmac_f32_e32 v41, v25, v41
	v_div_scale_f32 v25, vcc, v27, v11, v27
	v_mul_f32_e32 v42, v25, v41
	v_fma_f32 v45, -v38, v42, v25
	v_fmac_f32_e32 v42, v45, v41
	v_fma_f32 v25, -v38, v42, v25
	v_div_fmas_f32 v25, v25, v41, v42
	v_div_fixup_f32 v25, v25, v11, v27
	v_add_f32_e32 v25, v25, v31
	v_mul_f32_e32 v27, v13, v39
	v_div_scale_f32 v38, s[4:5], v25, v25, v27
	v_rcp_f32_e32 v41, v38
	v_fma_f32 v8, -v38, v41, 1.0
	v_fmac_f32_e32 v41, v8, v41
	v_div_scale_f32 v8, vcc, v27, v25, v27
	v_mul_f32_e32 v24, v8, v41
	v_fma_f32 v26, -v38, v24, v8
	v_fmac_f32_e32 v24, v26, v41
	v_fma_f32 v8, -v38, v24, v8
	v_div_fmas_f32 v8, v8, v41, v24
	v_div_fixup_f32 v8, v8, v25, v27
	v_sub_f32_e32 v7, v7, v8
	global_store_dwordx4 v[22:23], v[4:7], off
	v_cmp_o_f32_e32 vcc, v39, v39
	v_bfe_u32 v7, v39, 16, 1
	v_bfe_u32 v6, v35, 16, 1
	v_add3_u32 v7, v39, v7, s15
	v_bfe_u32 v5, v43, 16, 1
	v_add3_u32 v6, v35, v6, s15
	v_and_b32_e32 v7, 0xffff0000, v7
	v_bfe_u32 v4, v46, 16, 1
	v_add3_u32 v5, v43, v5, s15
	v_lshrrev_b32_e32 v6, 16, v6
	v_cndmask_b32_e32 v7, v33, v7, vcc
	v_cmp_o_f32_e32 vcc, v35, v35
	v_add3_u32 v4, v46, v4, s15
	v_and_b32_e32 v5, 0xffff0000, v5
	v_cndmask_b32_e32 v6, v34, v6, vcc
	v_cmp_o_f32_e32 vcc, v43, v43
	v_lshrrev_b32_e32 v4, 16, v4
	v_cndmask_b32_e32 v5, v33, v5, vcc
	v_cmp_o_f32_e32 vcc, v46, v46
	v_cndmask_b32_e32 v4, v34, v4, vcc
	v_or_b32_e32 v4, v5, v4
	v_or3_b32 v5, 0, v6, v7
	v_bfe_u32 v7, v40, 16, 1
	v_or3_b32 v4, v4, 0, 0
	v_bfe_u32 v6, v36, 16, 1
	v_add3_u32 v7, v40, v7, s15
	global_store_dwordx2 v[20:21], v[4:5], off
	v_bfe_u32 v5, v44, 16, 1
	v_add3_u32 v6, v36, v6, s15
	v_and_b32_e32 v7, 0xffff0000, v7
	v_cmp_o_f32_e32 vcc, v40, v40
	v_bfe_u32 v4, v48, 16, 1
	v_add3_u32 v5, v44, v5, s15
	v_lshrrev_b32_e32 v6, 16, v6
	v_cndmask_b32_e32 v7, v33, v7, vcc
	v_cmp_o_f32_e32 vcc, v36, v36
	v_add3_u32 v4, v48, v4, s15
	v_and_b32_e32 v5, 0xffff0000, v5
	v_cndmask_b32_e32 v6, v34, v6, vcc
	v_cmp_o_f32_e32 vcc, v44, v44
	v_lshrrev_b32_e32 v4, 16, v4
	v_cndmask_b32_e32 v5, v33, v5, vcc
	v_cmp_o_f32_e32 vcc, v48, v48
	v_cndmask_b32_e32 v4, v34, v4, vcc
	v_or_b32_e32 v4, v5, v4
	v_or3_b32 v5, 0, v6, v7
	v_or3_b32 v4, v4, 0, 0
	s_and_b64 vcc, exec, s[2:3]
	global_store_dwordx2 v[18:19], v[4:5], off
	s_cbranch_vccnz .LBB0_73
; %bb.83:                               ;   in Loop: Header=BB0_74 Depth=1
	global_store_dwordx4 v[16:17], v[0:3], off
	s_branch .LBB0_73
.LBB0_84:
	s_endpgm
	.section	.rodata,"a",@progbits
	.p2align	6, 0x0
	.amdhsa_kernel _ZN2at6native12_GLOBAL__N_125multi_tensor_apply_kernelINS1_32FusedOptimizerTensorListMetadataILi4EEENS1_22FusedAdamMathFunctorMPIfffN3c108BFloat16ES7_fLi4ELNS0_9ADAM_MODEE0ELb0EEEJPKfdddddbSB_SB_EEEvT_T0_DpT1_
		.amdhsa_group_segment_fixed_size 0
		.amdhsa_private_segment_fixed_size 0
		.amdhsa_kernarg_size 3672
		.amdhsa_user_sgpr_count 6
		.amdhsa_user_sgpr_private_segment_buffer 1
		.amdhsa_user_sgpr_dispatch_ptr 0
		.amdhsa_user_sgpr_queue_ptr 0
		.amdhsa_user_sgpr_kernarg_segment_ptr 1
		.amdhsa_user_sgpr_dispatch_id 0
		.amdhsa_user_sgpr_flat_scratch_init 0
		.amdhsa_user_sgpr_kernarg_preload_length 0
		.amdhsa_user_sgpr_kernarg_preload_offset 0
		.amdhsa_user_sgpr_private_segment_size 0
		.amdhsa_uses_dynamic_stack 0
		.amdhsa_system_sgpr_private_segment_wavefront_offset 0
		.amdhsa_system_sgpr_workgroup_id_x 1
		.amdhsa_system_sgpr_workgroup_id_y 0
		.amdhsa_system_sgpr_workgroup_id_z 0
		.amdhsa_system_sgpr_workgroup_info 0
		.amdhsa_system_vgpr_workitem_id 0
		.amdhsa_next_free_vgpr 77
		.amdhsa_next_free_sgpr 96
		.amdhsa_accum_offset 80
		.amdhsa_reserve_vcc 1
		.amdhsa_reserve_flat_scratch 0
		.amdhsa_float_round_mode_32 0
		.amdhsa_float_round_mode_16_64 0
		.amdhsa_float_denorm_mode_32 3
		.amdhsa_float_denorm_mode_16_64 3
		.amdhsa_dx10_clamp 1
		.amdhsa_ieee_mode 1
		.amdhsa_fp16_overflow 0
		.amdhsa_tg_split 0
		.amdhsa_exception_fp_ieee_invalid_op 0
		.amdhsa_exception_fp_denorm_src 0
		.amdhsa_exception_fp_ieee_div_zero 0
		.amdhsa_exception_fp_ieee_overflow 0
		.amdhsa_exception_fp_ieee_underflow 0
		.amdhsa_exception_fp_ieee_inexact 0
		.amdhsa_exception_int_div_zero 0
	.end_amdhsa_kernel
	.section	.text._ZN2at6native12_GLOBAL__N_125multi_tensor_apply_kernelINS1_32FusedOptimizerTensorListMetadataILi4EEENS1_22FusedAdamMathFunctorMPIfffN3c108BFloat16ES7_fLi4ELNS0_9ADAM_MODEE0ELb0EEEJPKfdddddbSB_SB_EEEvT_T0_DpT1_,"axG",@progbits,_ZN2at6native12_GLOBAL__N_125multi_tensor_apply_kernelINS1_32FusedOptimizerTensorListMetadataILi4EEENS1_22FusedAdamMathFunctorMPIfffN3c108BFloat16ES7_fLi4ELNS0_9ADAM_MODEE0ELb0EEEJPKfdddddbSB_SB_EEEvT_T0_DpT1_,comdat
.Lfunc_end0:
	.size	_ZN2at6native12_GLOBAL__N_125multi_tensor_apply_kernelINS1_32FusedOptimizerTensorListMetadataILi4EEENS1_22FusedAdamMathFunctorMPIfffN3c108BFloat16ES7_fLi4ELNS0_9ADAM_MODEE0ELb0EEEJPKfdddddbSB_SB_EEEvT_T0_DpT1_, .Lfunc_end0-_ZN2at6native12_GLOBAL__N_125multi_tensor_apply_kernelINS1_32FusedOptimizerTensorListMetadataILi4EEENS1_22FusedAdamMathFunctorMPIfffN3c108BFloat16ES7_fLi4ELNS0_9ADAM_MODEE0ELb0EEEJPKfdddddbSB_SB_EEEvT_T0_DpT1_
                                        ; -- End function
	.section	.AMDGPU.csdata,"",@progbits
; Kernel info:
; codeLenInByte = 10592
; NumSgprs: 100
; NumVgprs: 77
; NumAgprs: 0
; TotalNumVgprs: 77
; ScratchSize: 0
; MemoryBound: 0
; FloatMode: 240
; IeeeMode: 1
; LDSByteSize: 0 bytes/workgroup (compile time only)
; SGPRBlocks: 12
; VGPRBlocks: 9
; NumSGPRsForWavesPerEU: 100
; NumVGPRsForWavesPerEU: 77
; AccumOffset: 80
; Occupancy: 6
; WaveLimiterHint : 0
; COMPUTE_PGM_RSRC2:SCRATCH_EN: 0
; COMPUTE_PGM_RSRC2:USER_SGPR: 6
; COMPUTE_PGM_RSRC2:TRAP_HANDLER: 0
; COMPUTE_PGM_RSRC2:TGID_X_EN: 1
; COMPUTE_PGM_RSRC2:TGID_Y_EN: 0
; COMPUTE_PGM_RSRC2:TGID_Z_EN: 0
; COMPUTE_PGM_RSRC2:TIDIG_COMP_CNT: 0
; COMPUTE_PGM_RSRC3_GFX90A:ACCUM_OFFSET: 19
; COMPUTE_PGM_RSRC3_GFX90A:TG_SPLIT: 0
	.section	.text._ZN2at6native12_GLOBAL__N_125multi_tensor_apply_kernelINS1_32FusedOptimizerTensorListMetadataILi4EEENS1_20FusedAdamMathFunctorIdLi4ELNS0_9ADAM_MODEE0ELb0EEEJPKfdddddbS9_S9_EEEvT_T0_DpT1_,"axG",@progbits,_ZN2at6native12_GLOBAL__N_125multi_tensor_apply_kernelINS1_32FusedOptimizerTensorListMetadataILi4EEENS1_20FusedAdamMathFunctorIdLi4ELNS0_9ADAM_MODEE0ELb0EEEJPKfdddddbS9_S9_EEEvT_T0_DpT1_,comdat
	.globl	_ZN2at6native12_GLOBAL__N_125multi_tensor_apply_kernelINS1_32FusedOptimizerTensorListMetadataILi4EEENS1_20FusedAdamMathFunctorIdLi4ELNS0_9ADAM_MODEE0ELb0EEEJPKfdddddbS9_S9_EEEvT_T0_DpT1_ ; -- Begin function _ZN2at6native12_GLOBAL__N_125multi_tensor_apply_kernelINS1_32FusedOptimizerTensorListMetadataILi4EEENS1_20FusedAdamMathFunctorIdLi4ELNS0_9ADAM_MODEE0ELb0EEEJPKfdddddbS9_S9_EEEvT_T0_DpT1_
	.p2align	8
	.type	_ZN2at6native12_GLOBAL__N_125multi_tensor_apply_kernelINS1_32FusedOptimizerTensorListMetadataILi4EEENS1_20FusedAdamMathFunctorIdLi4ELNS0_9ADAM_MODEE0ELb0EEEJPKfdddddbS9_S9_EEEvT_T0_DpT1_,@function
_ZN2at6native12_GLOBAL__N_125multi_tensor_apply_kernelINS1_32FusedOptimizerTensorListMetadataILi4EEENS1_20FusedAdamMathFunctorIdLi4ELNS0_9ADAM_MODEE0ELb0EEEJPKfdddddbS9_S9_EEEvT_T0_DpT1_: ; @_ZN2at6native12_GLOBAL__N_125multi_tensor_apply_kernelINS1_32FusedOptimizerTensorListMetadataILi4EEENS1_20FusedAdamMathFunctorIdLi4ELNS0_9ADAM_MODEE0ELb0EEEJPKfdddddbS9_S9_EEEvT_T0_DpT1_
; %bb.0:
	v_mov_b32_e32 v1, s6
	global_load_ubyte v1, v1, s[4:5] offset:1728
	s_load_dwordx8 s[12:19], s[4:5], 0xd10
	s_add_u32 s0, s4, s6
	s_mul_hi_u32 s1, s6, 3
	s_mul_i32 s6, s6, 3
	s_addc_u32 s2, s5, 0
	s_add_u32 s0, s0, s6
	s_addc_u32 s1, s2, s1
	s_waitcnt lgkmcnt(0)
	s_cmp_eq_u64 s[12:13], 0
	v_pk_mov_b32 v[38:39], s[14:15], s[14:15] op_sel:[0,1]
	s_waitcnt vmcnt(0)
	v_readfirstlane_b32 s6, v1
	s_cbranch_scc1 .LBB1_2
; %bb.1:
	s_load_dword s2, s[12:13], 0x0
	s_waitcnt lgkmcnt(0)
	v_cvt_f64_f32_e32 v[38:39], s2
.LBB1_2:
	s_load_dwordx4 s[20:23], s[4:5], 0xd48
	s_waitcnt lgkmcnt(0)
	s_cmp_eq_u64 s[22:23], 0
	s_cselect_b64 s[2:3], -1, 0
	s_and_b64 vcc, exec, s[2:3]
	s_cbranch_vccnz .LBB1_4
; %bb.3:
	s_load_dword s2, s[22:23], 0x0
	s_waitcnt lgkmcnt(0)
	v_cmp_neq_f32_e64 s[2:3], s2, 1.0
.LBB1_4:
	s_andn2_b64 vcc, exec, s[2:3]
	s_cbranch_vccnz .LBB1_82
; %bb.5:
	s_load_dword s2, s[4:5], 0xd40
	s_load_dword s12, s[0:1], 0x800
	s_load_dwordx4 s[24:27], s[4:5], 0xd30
	v_cmp_eq_f64_e64 s[78:79], s[16:17], 1.0
	s_mov_b32 s11, 0
	s_waitcnt lgkmcnt(0)
	s_bitcmp1_b32 s2, 0
	s_cselect_b64 s[0:1], -1, 0
	s_and_b32 s2, s6, 0xff
	s_lshl_b32 s10, s2, 3
	s_load_dwordx2 s[2:3], s[4:5], s10 offset:0x5a0
	s_load_dwordx2 s[8:9], s[4:5], s10 offset:0x480
	s_mov_b32 s30, 0x4222de17
	s_mov_b32 s31, 0x3fbdee67
	;; [unrolled: 1-line block ×3, first 2 shown]
	s_waitcnt lgkmcnt(0)
	s_load_dword s6, s[2:3], 0x0
	s_and_b64 s[2:3], s[78:79], exec
	s_mov_b32 s35, 0x3fbe25e4
	s_mov_b32 s36, 0x47e6c9c2
	;; [unrolled: 1-line block ×3, first 2 shown]
	s_waitcnt lgkmcnt(0)
	v_cvt_f64_f32_e32 v[2:3], s6
	v_readfirstlane_b32 s33, v3
	v_readfirstlane_b32 s13, v2
	s_cselect_b32 s29, 0x3ff00000, s33
	s_cselect_b32 s28, 0, s13
	v_cmp_eq_f64_e64 s[2:3], s[28:29], 0
	s_and_b64 s[6:7], s[2:3], exec
	s_cselect_b32 s15, 0x3ff00000, s17
	s_cselect_b32 s14, 0, s16
	s_and_b32 s6, s17, 0x7fffffff
	s_and_b64 s[2:3], s[2:3], exec
	s_cselect_b32 s65, 0x3ff00000, s6
	s_cselect_b32 s64, 0, s16
	s_mov_b32 s6, 0x55555555
	v_frexp_mant_f64_e32 v[2:3], s[64:65]
	s_mov_b32 s7, 0x3fe55555
	v_frexp_exp_i32_f64_e32 v1, s[64:65]
	v_cmp_gt_f64_e32 vcc, s[6:7], v[2:3]
	v_subbrev_co_u32_e64 v1, s[2:3], 0, v1, vcc
	s_and_b64 s[2:3], vcc, exec
	s_cselect_b32 s3, 2.0, 0x3ff00000
	s_mov_b32 s2, s11
	v_mul_f64 v[2:3], v[2:3], s[2:3]
	v_add_f64 v[4:5], v[2:3], 1.0
	v_rcp_f64_e32 v[6:7], v[4:5]
	v_add_f64 v[10:11], v[4:5], -1.0
	v_add_f64 v[8:9], v[2:3], -1.0
	v_add_f64 v[2:3], v[2:3], -v[10:11]
	v_fma_f64 v[10:11], -v[4:5], v[6:7], 1.0
	v_fmac_f64_e32 v[6:7], v[10:11], v[6:7]
	v_fma_f64 v[10:11], -v[4:5], v[6:7], 1.0
	v_fmac_f64_e32 v[6:7], v[10:11], v[6:7]
	v_mul_f64 v[10:11], v[8:9], v[6:7]
	v_mul_f64 v[12:13], v[4:5], v[10:11]
	v_fma_f64 v[4:5], v[10:11], v[4:5], -v[12:13]
	v_fmac_f64_e32 v[4:5], v[10:11], v[2:3]
	v_add_f64 v[2:3], v[12:13], v[4:5]
	v_add_f64 v[14:15], v[8:9], -v[2:3]
	v_add_f64 v[12:13], v[2:3], -v[12:13]
	;; [unrolled: 1-line block ×5, first 2 shown]
	v_add_f64 v[2:3], v[4:5], v[2:3]
	v_add_f64 v[2:3], v[14:15], v[2:3]
	v_mul_f64 v[2:3], v[6:7], v[2:3]
	v_add_f64 v[4:5], v[10:11], v[2:3]
	v_add_f64 v[6:7], v[4:5], -v[10:11]
	v_add_f64 v[2:3], v[2:3], -v[6:7]
	v_mul_f64 v[6:7], v[4:5], v[4:5]
	v_fma_f64 v[8:9], v[4:5], v[4:5], -v[6:7]
	v_add_f64 v[10:11], v[2:3], v[2:3]
	v_fmac_f64_e32 v[8:9], v[4:5], v[10:11]
	v_add_f64 v[10:11], v[6:7], v[8:9]
	s_mov_b32 s2, 0x968915a9
	v_add_f64 v[6:7], v[10:11], -v[6:7]
	s_mov_b32 s3, 0x3fba6564
	v_add_f64 v[6:7], v[8:9], -v[6:7]
	v_pk_mov_b32 v[8:9], s[2:3], s[2:3] op_sel:[0,1]
	v_fma_f64 v[12:13], s[30:31], v[10:11], v[8:9]
	v_fma_f64 v[12:13], v[10:11], v[12:13], s[34:35]
	s_mov_b32 s38, 0xcfa74449
	s_mov_b32 s50, 0xfefa39ef
	v_fma_f64 v[12:13], v[10:11], v[12:13], s[36:37]
	s_mov_b32 s39, 0x3fc3b13b
	s_mov_b32 s40, 0x71bf3c30
	v_cvt_f64_i32_e32 v[14:15], v1
	s_mov_b32 s51, 0x3fe62e42
	v_fma_f64 v[12:13], v[10:11], v[12:13], s[38:39]
	s_mov_b32 s41, 0x3fc745d1
	s_mov_b32 s42, 0x1c7792ce
	v_mul_f64 v[16:17], v[14:15], s[50:51]
	s_mov_b32 s46, 0x3b39803f
	v_mul_f64 v[22:23], v[4:5], v[10:11]
	v_fma_f64 v[12:13], v[10:11], v[12:13], s[40:41]
	s_mov_b32 s43, 0x3fcc71c7
	s_mov_b32 s44, 0x924920da
	v_fma_f64 v[18:19], v[14:15], s[50:51], -v[16:17]
	s_mov_b32 s47, 0x3c7abc9e
	v_fma_f64 v[24:25], v[10:11], v[4:5], -v[22:23]
	v_fma_f64 v[12:13], v[10:11], v[12:13], s[42:43]
	s_mov_b32 s45, 0x3fd24924
	s_mov_b32 s48, 0x9999999c
	v_fmac_f64_e32 v[18:19], s[46:47], v[14:15]
	v_fmac_f64_e32 v[24:25], v[10:11], v[2:3]
	v_fma_f64 v[12:13], v[10:11], v[12:13], s[44:45]
	s_mov_b32 s49, 0x3fd99999
	v_add_f64 v[14:15], v[16:17], v[18:19]
	v_fmac_f64_e32 v[24:25], v[6:7], v[4:5]
	v_fma_f64 v[12:13], v[10:11], v[12:13], s[48:49]
	v_add_f64 v[16:17], v[14:15], -v[16:17]
	v_ldexp_f64 v[20:21], v[2:3], 1
	v_add_f64 v[2:3], v[22:23], v[24:25]
	v_add_f64 v[16:17], v[18:19], -v[16:17]
	v_ldexp_f64 v[18:19], v[4:5], 1
	v_add_f64 v[4:5], v[2:3], -v[22:23]
	v_mul_f64 v[22:23], v[10:11], v[12:13]
	v_fma_f64 v[10:11], v[10:11], v[12:13], -v[22:23]
	v_fmac_f64_e32 v[10:11], v[6:7], v[12:13]
	v_add_f64 v[6:7], v[22:23], v[10:11]
	v_add_f64 v[12:13], v[6:7], -v[22:23]
	v_add_f64 v[10:11], v[10:11], -v[12:13]
	v_add_f64 v[12:13], v[6:7], s[6:7]
	s_mov_b32 s53, 0xbfe55555
	s_mov_b32 s52, s6
	;; [unrolled: 1-line block ×3, first 2 shown]
	v_add_f64 v[22:23], v[12:13], s[52:53]
	s_mov_b32 s55, 0x3c8543b0
	v_add_f64 v[6:7], v[6:7], -v[22:23]
	v_add_f64 v[10:11], v[10:11], s[54:55]
	v_add_f64 v[6:7], v[10:11], v[6:7]
	;; [unrolled: 1-line block ×3, first 2 shown]
	v_add_f64 v[12:13], v[12:13], -v[10:11]
	v_add_f64 v[6:7], v[6:7], v[12:13]
	v_mul_f64 v[12:13], v[2:3], v[10:11]
	v_fma_f64 v[22:23], v[2:3], v[10:11], -v[12:13]
	v_add_f64 v[4:5], v[24:25], -v[4:5]
	v_fmac_f64_e32 v[22:23], v[2:3], v[6:7]
	v_fmac_f64_e32 v[22:23], v[4:5], v[10:11]
	v_add_f64 v[2:3], v[12:13], v[22:23]
	v_add_f64 v[4:5], v[2:3], -v[12:13]
	v_add_f64 v[6:7], v[18:19], v[2:3]
	v_add_f64 v[4:5], v[22:23], -v[4:5]
	v_add_f64 v[10:11], v[6:7], -v[18:19]
	;; [unrolled: 1-line block ×3, first 2 shown]
	v_add_f64 v[4:5], v[20:21], v[4:5]
	v_add_f64 v[2:3], v[4:5], v[2:3]
	;; [unrolled: 1-line block ×3, first 2 shown]
	v_add_f64 v[6:7], v[4:5], -v[6:7]
	v_add_f64 v[2:3], v[2:3], -v[6:7]
	v_add_f64 v[6:7], v[14:15], v[4:5]
	v_add_f64 v[10:11], v[6:7], -v[14:15]
	v_add_f64 v[12:13], v[6:7], -v[10:11]
	;; [unrolled: 1-line block ×4, first 2 shown]
	v_add_f64 v[4:5], v[4:5], v[12:13]
	v_add_f64 v[10:11], v[16:17], v[2:3]
	v_add_f64 v[12:13], v[10:11], -v[16:17]
	v_add_f64 v[4:5], v[10:11], v[4:5]
	v_add_f64 v[14:15], v[10:11], -v[12:13]
	;; [unrolled: 2-line block ×3, first 2 shown]
	v_add_f64 v[2:3], v[2:3], -v[12:13]
	v_add_f64 v[6:7], v[10:11], -v[6:7]
	v_add_f64 v[2:3], v[2:3], v[14:15]
	v_add_f64 v[4:5], v[4:5], -v[6:7]
	v_add_f64 v[2:3], v[2:3], v[4:5]
	v_add_f64 v[4:5], v[10:11], v[2:3]
	v_add_f64 v[6:7], v[4:5], -v[10:11]
	v_add_f64 v[2:3], v[2:3], -v[6:7]
	v_mul_f64 v[6:7], s[28:29], v[4:5]
	v_fma_f64 v[4:5], s[28:29], v[4:5], -v[6:7]
	v_fmac_f64_e32 v[4:5], s[28:29], v[2:3]
	s_movk_i32 s91, 0x204
	v_add_f64 v[2:3], v[6:7], v[4:5]
	v_cmp_class_f64_e64 vcc, v[6:7], s91
	s_mov_b32 s56, 0x652b82fe
	v_add_f64 v[10:11], v[2:3], -v[6:7]
	v_cndmask_b32_e32 v3, v3, v7, vcc
	v_cndmask_b32_e32 v2, v2, v6, vcc
	s_mov_b32 s57, 0x3ff71547
	v_mul_f64 v[6:7], v[2:3], s[56:57]
	v_rndne_f64_e32 v[6:7], v[6:7]
	s_mov_b32 s59, 0xbfe62e42
	s_mov_b32 s58, s50
	;; [unrolled: 1-line block ×3, first 2 shown]
	v_add_f64 v[4:5], v[4:5], -v[10:11]
	v_fma_f64 v[10:11], s[58:59], v[6:7], v[2:3]
	s_mov_b32 s61, 0xbc7abc9e
	s_mov_b32 s60, s46
	;; [unrolled: 1-line block ×4, first 2 shown]
	v_fmac_f64_e32 v[10:11], s[60:61], v[6:7]
	s_mov_b32 s63, 0x3e5ade15
	v_pk_mov_b32 v[12:13], s[2:3], s[2:3] op_sel:[0,1]
	s_mov_b32 s66, 0x623fde64
	v_fma_f64 v[14:15], s[62:63], v[10:11], v[12:13]
	s_mov_b32 s67, 0x3ec71dee
	s_mov_b32 s68, 0x7c89e6b0
	v_fma_f64 v[14:15], v[10:11], v[14:15], s[66:67]
	s_mov_b32 s69, 0x3efa0199
	;; [unrolled: 3-line block ×9, first 2 shown]
	v_fma_f64 v[14:15], v[10:11], v[14:15], 1.0
	s_mov_b32 s84, 0
	v_cmp_neq_f64_e64 vcc, |v[2:3]|, s[22:23]
	v_fma_f64 v[10:11], v[10:11], v[14:15], 1.0
	v_cvt_i32_f64_e32 v1, v[6:7]
	s_mov_b32 s85, 0x40900000
	v_cndmask_b32_e32 v5, 0, v5, vcc
	v_cndmask_b32_e32 v4, 0, v4, vcc
	v_ldexp_f64 v[6:7], v[10:11], v1
	v_cmp_lt_f64_e32 vcc, s[84:85], v[2:3]
	v_mov_b32_e32 v32, 0x7ff00000
	v_cndmask_b32_e32 v10, v7, v32, vcc
	v_and_b32_e32 v7, 0x7fffffff, v7
	s_mov_b32 s86, 0
	v_cmp_eq_f64_e64 s[2:3], s[22:23], v[6:7]
	s_mov_b32 s87, 0xc090cc00
	v_cndmask_b32_e64 v1, v6, 0, vcc
	s_or_b64 s[2:3], vcc, s[2:3]
	v_cmp_ngt_f64_e32 vcc, s[86:87], v[2:3]
	v_cndmask_b32_e32 v3, 0, v10, vcc
	v_cndmask_b32_e32 v2, 0, v1, vcc
	v_pk_mov_b32 v[6:7], v[2:3], v[2:3] op_sel:[0,1]
	v_fmac_f64_e32 v[6:7], v[6:7], v[4:5]
	s_and_b64 vcc, vcc, s[2:3]
	v_mul_f64 v[4:5], s[28:29], 0.5
	v_cndmask_b32_e32 v1, v6, v2, vcc
	v_cndmask_b32_e32 v10, v7, v3, vcc
	v_trunc_f64_e32 v[2:3], s[28:29]
	v_trunc_f64_e32 v[6:7], v[4:5]
	v_cmp_neq_f64_e32 vcc, v[6:7], v[4:5]
	v_cmp_eq_f64_e64 s[2:3], s[28:29], v[2:3]
	s_and_b64 s[88:89], s[2:3], vcc
	s_and_b64 s[92:93], s[88:89], exec
	s_cselect_b32 s90, s15, 0x3ff00000
	v_mov_b32_e32 v2, s90
	s_brev_b32 s90, -2
	v_mov_b32_e32 v33, 0x7ff80000
	v_bfi_b32 v2, s90, v10, v2
	s_and_b32 s92, s33, 0x7fffffff
	v_cndmask_b32_e64 v3, v33, v2, s[2:3]
	v_cndmask_b32_e64 v4, 0, v1, s[2:3]
	s_and_b64 s[2:3], s[78:79], exec
	v_cmp_lt_f64_e64 vcc, s[14:15], 0
	s_cselect_b32 s3, 0x3ff00000, s92
	s_cselect_b32 s2, 0, s13
	v_cndmask_b32_e32 v1, v1, v4, vcc
	v_cndmask_b32_e32 v4, v2, v3, vcc
	v_pk_mov_b32 v[2:3], s[2:3], s[2:3] op_sel:[0,1]
	v_cmp_neq_f64_e32 vcc, s[28:29], v[2:3]
	v_cmp_lt_f64_e64 s[78:79], s[64:65], 1.0
	s_xor_b64 s[78:79], vcc, s[78:79]
	s_and_b64 s[78:79], s[78:79], exec
	v_cmp_eq_f64_e64 s[78:79], s[64:65], 1.0
	s_cselect_b32 s93, 0, s3
	s_cselect_b32 s94, 0, s2
	s_and_b64 s[78:79], s[78:79], exec
	s_cselect_b32 s78, s65, s93
	v_mov_b32_e32 v5, s78
	s_cselect_b32 s78, s64, s94
	v_pk_mov_b32 v[2:3], s[22:23], s[22:23] op_sel:[0,1]
	v_mov_b32_e32 v6, s78
	v_cmp_eq_f64_e32 vcc, s[2:3], v[2:3]
	v_cndmask_b32_e32 v5, v4, v5, vcc
	v_cndmask_b32_e32 v1, v1, v6, vcc
	v_cmp_eq_f64_e32 vcc, s[64:65], v[2:3]
	v_cmp_eq_f64_e64 s[2:3], s[14:15], 0
	v_cmp_lt_f64_e64 s[64:65], s[28:29], 0
	s_xor_b64 s[64:65], s[64:65], s[2:3]
	s_or_b64 vcc, vcc, s[2:3]
	s_and_b64 s[2:3], s[64:65], exec
	s_cselect_b32 s64, 0, 0x7ff00000
	s_and_b64 s[2:3], s[88:89], exec
	s_cselect_b32 s2, s15, 0
	v_mov_b32_e32 v4, s64
	v_mov_b32_e32 v6, s2
	v_cmp_eq_f64_e64 s[88:89], s[18:19], 1.0
	v_bfi_b32 v6, s90, v4, v6
	s_and_b64 s[2:3], s[88:89], exec
	v_cndmask_b32_e32 v5, v5, v6, vcc
	v_pk_mov_b32 v[6:7], s[28:29], s[28:29] op_sel:[0,1]
	s_cselect_b32 s29, 0x3ff00000, s33
	s_cselect_b32 s28, 0, s13
	v_cmp_eq_f64_e64 s[2:3], s[28:29], 0
	s_and_b64 s[64:65], s[2:3], exec
	s_cselect_b32 s65, 0x3ff00000, s19
	s_cselect_b32 s64, 0, s18
	s_and_b32 s33, s19, 0x7fffffff
	s_and_b64 s[2:3], s[2:3], exec
	s_cselect_b32 s79, 0x3ff00000, s33
	s_cselect_b32 s78, 0, s18
	v_frexp_mant_f64_e32 v[10:11], s[78:79]
	v_cndmask_b32_e64 v4, v1, 0, vcc
	v_frexp_exp_i32_f64_e32 v1, s[78:79]
	v_cmp_gt_f64_e32 vcc, s[6:7], v[10:11]
	v_subbrev_co_u32_e64 v1, s[2:3], 0, v1, vcc
	s_and_b64 s[2:3], vcc, exec
	s_cselect_b32 s3, 2.0, 0x3ff00000
	s_mov_b32 s2, s11
	v_mul_f64 v[10:11], v[10:11], s[2:3]
	v_add_f64 v[14:15], v[10:11], 1.0
	v_rcp_f64_e32 v[16:17], v[14:15]
	v_add_f64 v[20:21], v[14:15], -1.0
	v_add_f64 v[18:19], v[10:11], -1.0
	v_add_f64 v[10:11], v[10:11], -v[20:21]
	v_fma_f64 v[20:21], -v[14:15], v[16:17], 1.0
	v_fmac_f64_e32 v[16:17], v[20:21], v[16:17]
	v_fma_f64 v[20:21], -v[14:15], v[16:17], 1.0
	v_fmac_f64_e32 v[16:17], v[20:21], v[16:17]
	v_mul_f64 v[20:21], v[18:19], v[16:17]
	v_mul_f64 v[22:23], v[14:15], v[20:21]
	v_fma_f64 v[14:15], v[20:21], v[14:15], -v[22:23]
	v_fmac_f64_e32 v[14:15], v[20:21], v[10:11]
	v_add_f64 v[10:11], v[22:23], v[14:15]
	v_add_f64 v[24:25], v[18:19], -v[10:11]
	v_add_f64 v[22:23], v[10:11], -v[22:23]
	;; [unrolled: 1-line block ×5, first 2 shown]
	v_add_f64 v[10:11], v[14:15], v[10:11]
	v_add_f64 v[10:11], v[24:25], v[10:11]
	v_mul_f64 v[10:11], v[16:17], v[10:11]
	v_add_f64 v[14:15], v[20:21], v[10:11]
	v_add_f64 v[16:17], v[14:15], -v[20:21]
	v_add_f64 v[10:11], v[10:11], -v[16:17]
	v_mul_f64 v[16:17], v[14:15], v[14:15]
	v_fma_f64 v[18:19], v[14:15], v[14:15], -v[16:17]
	v_add_f64 v[20:21], v[10:11], v[10:11]
	v_fmac_f64_e32 v[18:19], v[14:15], v[20:21]
	v_add_f64 v[20:21], v[16:17], v[18:19]
	v_fmac_f64_e32 v[8:9], s[30:31], v[20:21]
	v_fma_f64 v[8:9], v[20:21], v[8:9], s[34:35]
	v_cvt_f64_i32_e32 v[22:23], v1
	v_fma_f64 v[8:9], v[20:21], v[8:9], s[36:37]
	v_mul_f64 v[24:25], v[22:23], s[50:51]
	v_fma_f64 v[8:9], v[20:21], v[8:9], s[38:39]
	v_fma_f64 v[26:27], v[22:23], s[50:51], -v[24:25]
	v_mul_f64 v[28:29], v[14:15], v[20:21]
	v_fma_f64 v[8:9], v[20:21], v[8:9], s[40:41]
	v_add_f64 v[16:17], v[20:21], -v[16:17]
	v_fmac_f64_e32 v[26:27], s[46:47], v[22:23]
	v_fma_f64 v[30:31], v[20:21], v[14:15], -v[28:29]
	v_fma_f64 v[8:9], v[20:21], v[8:9], s[42:43]
	v_add_f64 v[16:17], v[18:19], -v[16:17]
	v_add_f64 v[18:19], v[24:25], v[26:27]
	v_fmac_f64_e32 v[30:31], v[20:21], v[10:11]
	v_fma_f64 v[8:9], v[20:21], v[8:9], s[44:45]
	v_add_f64 v[22:23], v[18:19], -v[24:25]
	v_fmac_f64_e32 v[30:31], v[16:17], v[14:15]
	v_fma_f64 v[8:9], v[20:21], v[8:9], s[48:49]
	v_add_f64 v[22:23], v[26:27], -v[22:23]
	v_ldexp_f64 v[26:27], v[10:11], 1
	v_add_f64 v[10:11], v[28:29], v[30:31]
	v_ldexp_f64 v[24:25], v[14:15], 1
	v_add_f64 v[14:15], v[10:11], -v[28:29]
	v_mul_f64 v[28:29], v[20:21], v[8:9]
	v_fma_f64 v[20:21], v[20:21], v[8:9], -v[28:29]
	v_fmac_f64_e32 v[20:21], v[16:17], v[8:9]
	v_add_f64 v[8:9], v[28:29], v[20:21]
	v_add_f64 v[16:17], v[8:9], -v[28:29]
	v_add_f64 v[16:17], v[20:21], -v[16:17]
	v_add_f64 v[20:21], v[8:9], s[6:7]
	v_add_f64 v[28:29], v[20:21], s[52:53]
	v_add_f64 v[8:9], v[8:9], -v[28:29]
	v_add_f64 v[16:17], v[16:17], s[54:55]
	v_add_f64 v[8:9], v[16:17], v[8:9]
	;; [unrolled: 1-line block ×3, first 2 shown]
	v_add_f64 v[20:21], v[20:21], -v[16:17]
	v_add_f64 v[8:9], v[8:9], v[20:21]
	v_mul_f64 v[20:21], v[10:11], v[16:17]
	v_fma_f64 v[28:29], v[10:11], v[16:17], -v[20:21]
	v_add_f64 v[14:15], v[30:31], -v[14:15]
	v_fmac_f64_e32 v[28:29], v[10:11], v[8:9]
	v_fmac_f64_e32 v[28:29], v[14:15], v[16:17]
	v_add_f64 v[8:9], v[20:21], v[28:29]
	v_add_f64 v[10:11], v[8:9], -v[20:21]
	v_add_f64 v[14:15], v[24:25], v[8:9]
	v_add_f64 v[10:11], v[28:29], -v[10:11]
	v_add_f64 v[16:17], v[14:15], -v[24:25]
	;; [unrolled: 1-line block ×3, first 2 shown]
	v_add_f64 v[10:11], v[26:27], v[10:11]
	v_add_f64 v[8:9], v[10:11], v[8:9]
	;; [unrolled: 1-line block ×3, first 2 shown]
	v_add_f64 v[14:15], v[10:11], -v[14:15]
	v_add_f64 v[8:9], v[8:9], -v[14:15]
	v_add_f64 v[14:15], v[18:19], v[10:11]
	v_add_f64 v[16:17], v[14:15], -v[18:19]
	v_add_f64 v[20:21], v[14:15], -v[16:17]
	;; [unrolled: 1-line block ×4, first 2 shown]
	v_add_f64 v[10:11], v[10:11], v[18:19]
	v_add_f64 v[16:17], v[22:23], v[8:9]
	v_add_f64 v[18:19], v[16:17], -v[22:23]
	v_add_f64 v[10:11], v[16:17], v[10:11]
	v_add_f64 v[20:21], v[16:17], -v[18:19]
	v_add_f64 v[16:17], v[14:15], v[10:11]
	v_add_f64 v[20:21], v[22:23], -v[20:21]
	v_add_f64 v[8:9], v[8:9], -v[18:19]
	v_add_f64 v[14:15], v[16:17], -v[14:15]
	v_add_f64 v[8:9], v[8:9], v[20:21]
	v_add_f64 v[10:11], v[10:11], -v[14:15]
	v_add_f64 v[8:9], v[8:9], v[10:11]
	v_add_f64 v[10:11], v[16:17], v[8:9]
	v_add_f64 v[14:15], v[10:11], -v[16:17]
	v_add_f64 v[8:9], v[8:9], -v[14:15]
	v_mul_f64 v[14:15], s[28:29], v[10:11]
	v_fma_f64 v[10:11], s[28:29], v[10:11], -v[14:15]
	v_fmac_f64_e32 v[10:11], s[28:29], v[8:9]
	v_add_f64 v[8:9], v[14:15], v[10:11]
	v_cmp_class_f64_e64 vcc, v[14:15], s91
	v_add_f64 v[16:17], v[8:9], -v[14:15]
	v_cndmask_b32_e32 v9, v9, v15, vcc
	v_cndmask_b32_e32 v8, v8, v14, vcc
	v_mul_f64 v[14:15], v[8:9], s[56:57]
	v_rndne_f64_e32 v[14:15], v[14:15]
	v_add_f64 v[10:11], v[10:11], -v[16:17]
	v_fma_f64 v[16:17], s[58:59], v[14:15], v[8:9]
	v_fmac_f64_e32 v[16:17], s[60:61], v[14:15]
	v_fmac_f64_e32 v[12:13], s[62:63], v[16:17]
	v_fma_f64 v[12:13], v[16:17], v[12:13], s[66:67]
	v_fma_f64 v[12:13], v[16:17], v[12:13], s[68:69]
	;; [unrolled: 1-line block ×8, first 2 shown]
	v_fma_f64 v[12:13], v[16:17], v[12:13], 1.0
	v_cmp_neq_f64_e64 vcc, |v[8:9]|, s[22:23]
	v_fma_f64 v[12:13], v[16:17], v[12:13], 1.0
	v_cvt_i32_f64_e32 v1, v[14:15]
	v_cndmask_b32_e32 v11, 0, v11, vcc
	v_cndmask_b32_e32 v10, 0, v10, vcc
	v_ldexp_f64 v[12:13], v[12:13], v1
	v_cmp_lt_f64_e32 vcc, s[84:85], v[8:9]
	v_cndmask_b32_e64 v1, v12, 0, vcc
	v_cndmask_b32_e32 v14, v13, v32, vcc
	v_cmp_ngt_f64_e64 s[2:3], s[86:87], v[8:9]
	v_and_b32_e32 v13, 0x7fffffff, v13
	v_cndmask_b32_e64 v9, 0, v14, s[2:3]
	v_cndmask_b32_e64 v8, 0, v1, s[2:3]
	v_cmp_eq_f64_e64 s[6:7], s[22:23], v[12:13]
	v_pk_mov_b32 v[14:15], v[8:9], v[8:9] op_sel:[0,1]
	s_or_b64 s[6:7], vcc, s[6:7]
	v_fmac_f64_e32 v[14:15], v[14:15], v[10:11]
	s_and_b64 vcc, s[2:3], s[6:7]
	v_mul_f64 v[10:11], s[28:29], 0.5
	v_cndmask_b32_e32 v1, v14, v8, vcc
	v_cndmask_b32_e32 v14, v15, v9, vcc
	v_trunc_f64_e32 v[8:9], s[28:29]
	v_trunc_f64_e32 v[12:13], v[10:11]
	v_cmp_neq_f64_e32 vcc, v[12:13], v[10:11]
	v_cmp_eq_f64_e64 s[2:3], s[28:29], v[8:9]
	s_and_b64 s[6:7], s[2:3], vcc
	s_and_b64 s[22:23], s[6:7], exec
	s_cselect_b32 s22, s65, 0x3ff00000
	v_mov_b32_e32 v8, s22
	v_bfi_b32 v8, s90, v14, v8
	v_cndmask_b32_e64 v9, v33, v8, s[2:3]
	v_cndmask_b32_e64 v10, 0, v1, s[2:3]
	s_and_b64 s[2:3], s[88:89], exec
	v_cmp_lt_f64_e64 vcc, s[64:65], 0
	s_cselect_b32 s3, 0x3ff00000, s92
	s_cselect_b32 s2, 0, s13
	v_cndmask_b32_e32 v1, v1, v10, vcc
	v_cndmask_b32_e32 v10, v8, v9, vcc
	v_pk_mov_b32 v[8:9], s[2:3], s[2:3] op_sel:[0,1]
	v_cmp_neq_f64_e32 vcc, s[28:29], v[8:9]
	v_cmp_lt_f64_e64 s[30:31], s[78:79], 1.0
	s_xor_b64 s[30:31], vcc, s[30:31]
	v_cmp_eq_f64_e64 s[22:23], s[78:79], 1.0
	s_and_b64 s[30:31], s[30:31], exec
	s_cselect_b32 s13, 0, s3
	s_cselect_b32 s30, 0, s2
	s_and_b64 s[22:23], s[22:23], exec
	s_cselect_b32 s22, s78, s30
	s_cselect_b32 s13, s79, s13
	v_mov_b32_e32 v8, s13
	v_cmp_eq_f64_e32 vcc, s[2:3], v[2:3]
	v_mov_b32_e32 v9, s22
	v_cndmask_b32_e32 v8, v10, v8, vcc
	v_cndmask_b32_e32 v1, v1, v9, vcc
	v_cmp_eq_f64_e32 vcc, s[78:79], v[2:3]
	v_cmp_eq_f64_e64 s[2:3], s[64:65], 0
	v_cmp_lt_f64_e64 s[22:23], s[28:29], 0
	s_xor_b64 s[22:23], s[22:23], s[2:3]
	s_or_b64 vcc, vcc, s[2:3]
	s_and_b64 s[2:3], s[22:23], exec
	s_cselect_b32 s13, 0, 0x7ff00000
	s_and_b64 s[2:3], s[6:7], exec
	s_cselect_b32 s2, s65, 0
	v_mov_b32_e32 v2, s13
	v_mov_b32_e32 v3, s2
	v_bfi_b32 v3, s90, v2, v3
	v_cndmask_b32_e64 v2, v1, 0, vcc
	v_cndmask_b32_e32 v3, v8, v3, vcc
	v_pk_mov_b32 v[8:9], s[28:29], s[28:29] op_sel:[0,1]
	v_add_f64 v[2:3], -v[2:3], 1.0
	v_cmp_o_f64_e32 vcc, s[64:65], v[8:9]
	s_mov_b32 s2, 0
	v_cndmask_b32_e32 v3, v33, v3, vcc
	v_cndmask_b32_e32 v2, 0, v2, vcc
	s_brev_b32 s3, 8
	v_cmp_gt_f64_e32 vcc, s[2:3], v[2:3]
	v_cndmask_b32_e64 v1, 0, 1, vcc
	v_lshlrev_b32_e32 v1, 8, v1
	v_ldexp_f64 v[2:3], v[2:3], v1
	v_rsq_f64_e32 v[8:9], v[2:3]
	v_add_f64 v[4:5], -v[4:5], 1.0
	v_cmp_o_f64_e64 s[2:3], s[14:15], v[6:7]
	v_cndmask_b32_e64 v43, v33, v5, s[2:3]
	v_cndmask_b32_e64 v42, 0, v4, s[2:3]
	v_mul_f64 v[4:5], v[2:3], v[8:9]
	v_mul_f64 v[6:7], v[8:9], 0.5
	v_fma_f64 v[8:9], -v[6:7], v[4:5], 0.5
	v_fmac_f64_e32 v[4:5], v[4:5], v[8:9]
	v_fma_f64 v[10:11], -v[4:5], v[4:5], v[2:3]
	v_fmac_f64_e32 v[6:7], v[6:7], v[8:9]
	v_fmac_f64_e32 v[4:5], v[10:11], v[6:7]
	v_fma_f64 v[8:9], -v[4:5], v[4:5], v[2:3]
	s_and_b64 s[2:3], vcc, exec
	s_load_dwordx2 s[36:37], s[4:5], s10 offset:0x0
	v_fmac_f64_e32 v[4:5], v[8:9], v[6:7]
	s_cselect_b32 s2, 0xffffff80, 0
	s_ashr_i32 s13, s12, 31
	v_ldexp_f64 v[4:5], v[4:5], s2
	s_lshl_b64 s[2:3], s[12:13], 16
	s_sub_u32 s14, s8, s2
	s_subb_u32 s15, s9, s3
	s_lshl_b64 s[22:23], s[12:13], 19
	s_load_dwordx2 s[12:13], s[4:5], s10 offset:0x120
	s_load_dwordx2 s[38:39], s[4:5], s10 offset:0x240
	;; [unrolled: 1-line block ×3, first 2 shown]
	s_waitcnt lgkmcnt(0)
	s_add_u32 s33, s36, s22
	s_addc_u32 s44, s37, s23
	s_and_b32 s9, s33, 31
	s_add_u32 s45, s12, s22
	s_addc_u32 s46, s13, s23
	s_and_b32 s10, s45, 31
	s_cmp_lg_u64 s[10:11], 0
	s_cselect_b64 s[2:3], -1, 0
	s_add_u32 s47, s38, s22
	s_addc_u32 s48, s39, s23
	s_add_u32 s49, s40, s22
	s_addc_u32 s50, s41, s23
	s_or_b32 s6, s49, s47
	s_and_b32 s6, s6, 31
	s_cmp_lg_u32 s6, 0
	s_cselect_b64 s[6:7], -1, 0
	s_or_b64 s[2:3], s[6:7], s[2:3]
	s_and_b32 s6, s8, 3
	s_or_b32 s10, s9, s6
	s_cmp_lg_u64 s[10:11], 0
	v_mov_b32_e32 v1, 0x260
	s_cselect_b64 s[6:7], -1, 0
	v_cmp_class_f64_e32 vcc, v[2:3], v1
	s_or_b64 s[2:3], s[2:3], s[6:7]
	v_cndmask_b32_e32 v41, v5, v3, vcc
	v_cndmask_b32_e32 v40, v4, v2, vcc
	s_andn2_b64 vcc, exec, s[2:3]
	s_mov_b64 s[2:3], -1
	s_cbranch_vccz .LBB1_20
; %bb.6:
	v_mov_b32_e32 v45, 0
	v_lshlrev_b32_e32 v44, 2, v0
	v_cmp_gt_i64_e32 vcc, s[14:15], v[44:45]
	s_and_saveexec_b64 s[28:29], vcc
	s_cbranch_execz .LBB1_19
; %bb.7:
	v_div_scale_f64 v[2:3], s[2:3], v[42:43], v[42:43], v[38:39]
	v_rcp_f64_e32 v[4:5], v[2:3]
	s_load_dword s8, s[4:5], 0xd64
	s_cmp_lg_u64 s[20:21], 0
	s_cselect_b64 s[6:7], -1, 0
	v_fma_f64 v[6:7], -v[2:3], v[4:5], 1.0
	v_fmac_f64_e32 v[4:5], v[4:5], v[6:7]
	v_fma_f64 v[6:7], -v[2:3], v[4:5], 1.0
	v_fmac_f64_e32 v[4:5], v[4:5], v[6:7]
	v_div_scale_f64 v[6:7], vcc, v[38:39], v[42:43], v[38:39]
	v_mul_f64 v[8:9], v[6:7], v[4:5]
	v_fma_f64 v[2:3], -v[2:3], v[8:9], v[6:7]
	s_waitcnt lgkmcnt(0)
	s_and_b32 s8, s8, 0xffff
	v_div_fmas_f64 v[2:3], v[2:3], v[4:5], v[8:9]
	v_add_lshl_u32 v44, v0, s8, 2
	v_cndmask_b32_e64 v1, 0, 1, s[6:7]
	s_mov_b32 s34, 0
	s_mov_b64 s[30:31], 0
	v_cmp_neq_f64_e64 s[2:3], s[24:25], 0
	v_div_fixup_f64 v[46:47], v[2:3], v[42:43], v[38:39]
	s_lshl_b32 s10, s8, 2
	v_lshlrev_b32_e32 v48, 5, v0
	s_lshl_b32 s51, s8, 5
	v_cmp_ne_u32_e64 s[6:7], 1, v1
	s_brev_b32 s35, 8
	v_mov_b32_e32 v1, 0x260
	s_mov_b64 s[42:43], 0xffff
	v_mov_b32_e32 v49, 0xffffff80
	v_pk_mov_b32 v[50:51], v[44:45], v[44:45] op_sel:[0,1]
	s_branch .LBB1_9
.LBB1_8:                                ;   in Loop: Header=BB1_9 Depth=1
	v_cmp_le_i64_e32 vcc, s[14:15], v[50:51]
	v_cmp_lt_u64_e64 s[8:9], s[42:43], v[50:51]
	s_or_b64 s[8:9], vcc, s[8:9]
	s_add_u32 s33, s33, s51
	s_addc_u32 s44, s44, 0
	s_add_u32 s49, s49, s51
	s_addc_u32 s50, s50, 0
	;; [unrolled: 2-line block ×4, first 2 shown]
	v_mov_b32_e32 v2, s11
	s_and_b64 s[8:9], exec, s[8:9]
	v_add_co_u32_e32 v50, vcc, s10, v50
	s_or_b64 s[30:31], s[8:9], s[30:31]
	v_addc_co_u32_e32 v51, vcc, v51, v2, vcc
	global_store_dwordx4 v[54:55], v[34:37], off
	global_store_dwordx4 v[54:55], v[22:25], off offset:16
	global_store_dwordx4 v[52:53], v[30:33], off
	global_store_dwordx4 v[52:53], v[26:29], off offset:16
	s_andn2_b64 exec, exec, s[30:31]
	s_cbranch_execz .LBB1_19
.LBB1_9:                                ; =>This Inner Loop Header: Depth=1
	v_mov_b32_e32 v2, s44
	v_add_co_u32_e32 v58, vcc, s33, v48
	v_addc_co_u32_e32 v59, vcc, 0, v2, vcc
	v_mov_b32_e32 v2, s46
	v_add_co_u32_e32 v56, vcc, s45, v48
	v_addc_co_u32_e32 v57, vcc, 0, v2, vcc
	v_mov_b32_e32 v18, s48
	v_add_co_u32_e32 v54, vcc, s47, v48
	v_addc_co_u32_e32 v55, vcc, 0, v18, vcc
	v_mov_b32_e32 v22, s50
	v_add_co_u32_e32 v52, vcc, s49, v48
	v_addc_co_u32_e32 v53, vcc, 0, v22, vcc
	global_load_dwordx4 v[10:13], v[58:59], off offset:16
	global_load_dwordx4 v[14:17], v[58:59], off
	global_load_dwordx4 v[2:5], v[56:57], off offset:16
	global_load_dwordx4 v[6:9], v[56:57], off
	;; [unrolled: 2-line block ×4, first 2 shown]
	s_and_b64 vcc, exec, s[6:7]
	s_cbranch_vccnz .LBB1_11
; %bb.10:                               ;   in Loop: Header=BB1_9 Depth=1
	global_load_dword v26, v45, s[20:21]
	s_waitcnt vmcnt(0)
	v_cvt_f64_f32_e32 v[26:27], v26
	v_div_scale_f64 v[32:33], s[8:9], v[26:27], v[26:27], v[6:7]
	v_rcp_f64_e32 v[60:61], v[32:33]
	v_div_scale_f64 v[62:63], vcc, v[6:7], v[26:27], v[6:7]
	v_fma_f64 v[64:65], -v[32:33], v[60:61], 1.0
	v_fmac_f64_e32 v[60:61], v[60:61], v[64:65]
	v_fma_f64 v[64:65], -v[32:33], v[60:61], 1.0
	v_fmac_f64_e32 v[60:61], v[60:61], v[64:65]
	v_mul_f64 v[64:65], v[62:63], v[60:61]
	v_fma_f64 v[32:33], -v[32:33], v[64:65], v[62:63]
	v_div_fmas_f64 v[32:33], v[32:33], v[60:61], v[64:65]
	v_div_fixup_f64 v[6:7], v[32:33], v[26:27], v[6:7]
.LBB1_11:                               ;   in Loop: Header=BB1_9 Depth=1
	s_and_b64 vcc, exec, s[6:7]
	s_cbranch_vccnz .LBB1_13
; %bb.12:                               ;   in Loop: Header=BB1_9 Depth=1
	global_load_dword v26, v45, s[20:21]
	s_waitcnt vmcnt(0)
	v_cvt_f64_f32_e32 v[26:27], v26
	v_div_scale_f64 v[32:33], s[8:9], v[26:27], v[26:27], v[8:9]
	v_rcp_f64_e32 v[60:61], v[32:33]
	v_div_scale_f64 v[62:63], vcc, v[8:9], v[26:27], v[8:9]
	v_fma_f64 v[64:65], -v[32:33], v[60:61], 1.0
	v_fmac_f64_e32 v[60:61], v[60:61], v[64:65]
	v_fma_f64 v[64:65], -v[32:33], v[60:61], 1.0
	v_fmac_f64_e32 v[60:61], v[60:61], v[64:65]
	v_mul_f64 v[64:65], v[62:63], v[60:61]
	v_fma_f64 v[32:33], -v[32:33], v[64:65], v[62:63]
	v_div_fmas_f64 v[32:33], v[32:33], v[60:61], v[64:65]
	v_div_fixup_f64 v[8:9], v[32:33], v[26:27], v[8:9]
.LBB1_13:                               ;   in Loop: Header=BB1_9 Depth=1
	;; [unrolled: 18-line block ×4, first 2 shown]
	s_waitcnt vmcnt(5)
	v_xor_b32_e32 v26, 0x80000000, v3
	v_cndmask_b32_e64 v27, v3, v26, s[0:1]
	v_cndmask_b32_e64 v26, v2, v2, s[0:1]
	v_pk_mov_b32 v[32:33], v[26:27], v[26:27] op_sel:[0,1]
	v_fmac_f64_e32 v[32:33], s[24:25], v[10:11]
	v_cndmask_b32_e64 v33, v27, v33, s[2:3]
	v_cndmask_b32_e64 v32, v26, v32, s[2:3]
	v_mul_f64 v[26:27], v[32:33], v[32:33]
	v_fma_f64 v[26:27], -s[18:19], v[26:27], v[26:27]
	s_waitcnt vmcnt(1)
	v_fmac_f64_e32 v[26:27], s[18:19], v[22:23]
	v_cmp_gt_f64_e32 vcc, s[34:35], v[26:27]
	v_cndmask_b32_e64 v22, 0, 1, vcc
	v_lshlrev_b32_e32 v22, 8, v22
	v_ldexp_f64 v[22:23], v[26:27], v22
	v_rsq_f64_e32 v[60:61], v[22:23]
	v_cndmask_b32_e32 v44, 0, v49, vcc
	v_cmp_class_f64_e32 vcc, v[22:23], v1
	v_mul_f64 v[62:63], v[22:23], v[60:61]
	v_mul_f64 v[60:61], v[60:61], 0.5
	v_fma_f64 v[64:65], -v[60:61], v[62:63], 0.5
	v_fmac_f64_e32 v[62:63], v[62:63], v[64:65]
	v_fma_f64 v[66:67], -v[62:63], v[62:63], v[22:23]
	v_fmac_f64_e32 v[60:61], v[60:61], v[64:65]
	v_fmac_f64_e32 v[62:63], v[66:67], v[60:61]
	v_fma_f64 v[64:65], -v[62:63], v[62:63], v[22:23]
	v_fmac_f64_e32 v[62:63], v[64:65], v[60:61]
	v_ldexp_f64 v[60:61], v[62:63], v44
	v_cndmask_b32_e32 v61, v61, v23, vcc
	v_cndmask_b32_e32 v60, v60, v22, vcc
	v_div_scale_f64 v[62:63], s[8:9], v[40:41], v[40:41], v[60:61]
	v_rcp_f64_e32 v[64:65], v[62:63]
	v_fma_f64 v[22:23], -s[16:17], v[32:33], v[32:33]
	v_fmac_f64_e32 v[22:23], s[16:17], v[18:19]
	v_fma_f64 v[18:19], -v[62:63], v[64:65], 1.0
	v_fmac_f64_e32 v[64:65], v[64:65], v[18:19]
	v_fma_f64 v[18:19], -v[62:63], v[64:65], 1.0
	v_fmac_f64_e32 v[64:65], v[64:65], v[18:19]
	v_div_scale_f64 v[18:19], vcc, v[60:61], v[40:41], v[60:61]
	v_mul_f64 v[32:33], v[18:19], v[64:65]
	v_fma_f64 v[18:19], -v[62:63], v[32:33], v[18:19]
	s_nop 1
	v_div_fmas_f64 v[18:19], v[18:19], v[64:65], v[32:33]
	v_div_fixup_f64 v[18:19], v[18:19], v[40:41], v[60:61]
	v_add_f64 v[18:19], v[18:19], s[26:27]
	v_mul_f64 v[60:61], v[46:47], v[22:23]
	v_div_scale_f64 v[62:63], s[8:9], v[18:19], v[18:19], v[60:61]
	v_rcp_f64_e32 v[64:65], v[62:63]
	v_div_scale_f64 v[70:71], s[8:9], v[60:61], v[18:19], v[60:61]
	v_fma_f64 v[32:33], -v[62:63], v[64:65], 1.0
	v_fmac_f64_e32 v[64:65], v[64:65], v[32:33]
	v_fma_f64 v[32:33], -v[62:63], v[64:65], 1.0
	v_fmac_f64_e32 v[64:65], v[64:65], v[32:33]
	v_xor_b32_e32 v32, 0x80000000, v9
	v_cndmask_b32_e64 v33, v9, v32, s[0:1]
	v_cndmask_b32_e64 v32, v8, v8, s[0:1]
	v_pk_mov_b32 v[66:67], v[32:33], v[32:33] op_sel:[0,1]
	v_fmac_f64_e32 v[66:67], s[24:25], v[16:17]
	v_cndmask_b32_e64 v67, v33, v67, s[2:3]
	v_cndmask_b32_e64 v66, v32, v66, s[2:3]
	v_mul_f64 v[32:33], v[66:67], v[66:67]
	v_fma_f64 v[32:33], -s[18:19], v[32:33], v[32:33]
	s_waitcnt vmcnt(0)
	v_fmac_f64_e32 v[32:33], s[18:19], v[36:37]
	v_cmp_gt_f64_e32 vcc, s[34:35], v[32:33]
	v_cndmask_b32_e64 v36, 0, 1, vcc
	v_lshlrev_b32_e32 v36, 8, v36
	v_ldexp_f64 v[36:37], v[32:33], v36
	v_rsq_f64_e32 v[68:69], v[36:37]
	v_mul_f64 v[72:73], v[70:71], v[64:65]
	v_fma_f64 v[62:63], -v[62:63], v[72:73], v[70:71]
	v_cndmask_b32_e32 v44, 0, v49, vcc
	v_mul_f64 v[70:71], v[36:37], v[68:69]
	v_mul_f64 v[68:69], v[68:69], 0.5
	v_fma_f64 v[74:75], -v[68:69], v[70:71], 0.5
	v_fmac_f64_e32 v[70:71], v[70:71], v[74:75]
	v_fma_f64 v[76:77], -v[70:71], v[70:71], v[36:37]
	v_fmac_f64_e32 v[68:69], v[68:69], v[74:75]
	v_fmac_f64_e32 v[70:71], v[76:77], v[68:69]
	v_fma_f64 v[74:75], -v[70:71], v[70:71], v[36:37]
	v_fmac_f64_e32 v[70:71], v[74:75], v[68:69]
	v_ldexp_f64 v[68:69], v[70:71], v44
	v_cmp_class_f64_e32 vcc, v[36:37], v1
	v_cndmask_b32_e32 v69, v69, v37, vcc
	v_cndmask_b32_e32 v68, v68, v36, vcc
	v_div_scale_f64 v[70:71], s[52:53], v[40:41], v[40:41], v[68:69]
	v_rcp_f64_e32 v[74:75], v[70:71]
	v_fma_f64 v[36:37], -s[16:17], v[66:67], v[66:67]
	v_fmac_f64_e32 v[36:37], s[16:17], v[30:31]
	s_mov_b64 vcc, s[8:9]
	v_fma_f64 v[30:31], -v[70:71], v[74:75], 1.0
	v_fmac_f64_e32 v[74:75], v[74:75], v[30:31]
	v_fma_f64 v[30:31], -v[70:71], v[74:75], 1.0
	v_div_fmas_f64 v[62:63], v[62:63], v[64:65], v[72:73]
	v_fmac_f64_e32 v[74:75], v[74:75], v[30:31]
	v_div_scale_f64 v[30:31], vcc, v[68:69], v[40:41], v[68:69]
	v_mul_f64 v[64:65], v[30:31], v[74:75]
	v_fma_f64 v[30:31], -v[70:71], v[64:65], v[30:31]
	v_mul_f64 v[66:67], v[46:47], v[36:37]
	s_nop 0
	v_div_fmas_f64 v[30:31], v[30:31], v[74:75], v[64:65]
	v_div_fixup_f64 v[30:31], v[30:31], v[40:41], v[68:69]
	v_add_f64 v[64:65], v[30:31], s[26:27]
	v_div_scale_f64 v[68:69], s[8:9], v[64:65], v[64:65], v[66:67]
	v_rcp_f64_e32 v[70:71], v[68:69]
	v_div_scale_f64 v[76:77], s[8:9], v[66:67], v[64:65], v[66:67]
	v_div_fixup_f64 v[18:19], v[62:63], v[18:19], v[60:61]
	v_fma_f64 v[30:31], -v[68:69], v[70:71], 1.0
	v_fmac_f64_e32 v[70:71], v[70:71], v[30:31]
	v_fma_f64 v[30:31], -v[68:69], v[70:71], 1.0
	v_fmac_f64_e32 v[70:71], v[70:71], v[30:31]
	v_xor_b32_e32 v30, 0x80000000, v7
	v_cndmask_b32_e64 v31, v7, v30, s[0:1]
	v_cndmask_b32_e64 v30, v6, v6, s[0:1]
	v_pk_mov_b32 v[72:73], v[30:31], v[30:31] op_sel:[0,1]
	v_fmac_f64_e32 v[72:73], s[24:25], v[14:15]
	v_cndmask_b32_e64 v73, v31, v73, s[2:3]
	v_cndmask_b32_e64 v72, v30, v72, s[2:3]
	v_mul_f64 v[30:31], v[72:73], v[72:73]
	v_fma_f64 v[30:31], -s[18:19], v[30:31], v[30:31]
	v_fmac_f64_e32 v[30:31], s[18:19], v[34:35]
	v_cmp_gt_f64_e32 vcc, s[34:35], v[30:31]
	v_cndmask_b32_e64 v34, 0, 1, vcc
	v_lshlrev_b32_e32 v34, 8, v34
	v_ldexp_f64 v[34:35], v[30:31], v34
	v_rsq_f64_e32 v[74:75], v[34:35]
	v_mul_f64 v[78:79], v[76:77], v[70:71]
	v_fma_f64 v[68:69], -v[68:69], v[78:79], v[76:77]
	v_cndmask_b32_e32 v44, 0, v49, vcc
	v_mul_f64 v[76:77], v[34:35], v[74:75]
	v_mul_f64 v[74:75], v[74:75], 0.5
	v_fma_f64 v[80:81], -v[74:75], v[76:77], 0.5
	v_fmac_f64_e32 v[76:77], v[76:77], v[80:81]
	v_fma_f64 v[82:83], -v[76:77], v[76:77], v[34:35]
	v_fmac_f64_e32 v[74:75], v[74:75], v[80:81]
	v_fmac_f64_e32 v[76:77], v[82:83], v[74:75]
	v_fma_f64 v[80:81], -v[76:77], v[76:77], v[34:35]
	v_fmac_f64_e32 v[76:77], v[80:81], v[74:75]
	v_ldexp_f64 v[74:75], v[76:77], v44
	v_cmp_class_f64_e32 vcc, v[34:35], v1
	v_cndmask_b32_e32 v75, v75, v35, vcc
	v_cndmask_b32_e32 v74, v74, v34, vcc
	v_div_scale_f64 v[76:77], s[52:53], v[40:41], v[40:41], v[74:75]
	v_rcp_f64_e32 v[80:81], v[76:77]
	v_fma_f64 v[34:35], -s[16:17], v[72:73], v[72:73]
	v_fmac_f64_e32 v[34:35], s[16:17], v[28:29]
	s_mov_b64 vcc, s[8:9]
	v_fma_f64 v[28:29], -v[76:77], v[80:81], 1.0
	v_fmac_f64_e32 v[80:81], v[80:81], v[28:29]
	v_fma_f64 v[28:29], -v[76:77], v[80:81], 1.0
	v_div_fmas_f64 v[68:69], v[68:69], v[70:71], v[78:79]
	v_fmac_f64_e32 v[80:81], v[80:81], v[28:29]
	v_div_scale_f64 v[28:29], vcc, v[74:75], v[40:41], v[74:75]
	v_mul_f64 v[70:71], v[28:29], v[80:81]
	v_fma_f64 v[28:29], -v[76:77], v[70:71], v[28:29]
	v_mul_f64 v[72:73], v[46:47], v[34:35]
	s_nop 0
	v_div_fmas_f64 v[28:29], v[28:29], v[80:81], v[70:71]
	v_div_fixup_f64 v[28:29], v[28:29], v[40:41], v[74:75]
	v_add_f64 v[70:71], v[28:29], s[26:27]
	v_div_scale_f64 v[74:75], s[8:9], v[70:71], v[70:71], v[72:73]
	v_rcp_f64_e32 v[76:77], v[74:75]
	v_add_f64 v[10:11], v[10:11], -v[18:19]
	v_div_fixup_f64 v[18:19], v[68:69], v[64:65], v[66:67]
	v_div_scale_f64 v[64:65], s[8:9], v[72:73], v[70:71], v[72:73]
	v_fma_f64 v[28:29], -v[74:75], v[76:77], 1.0
	v_fmac_f64_e32 v[76:77], v[76:77], v[28:29]
	v_fma_f64 v[28:29], -v[74:75], v[76:77], 1.0
	v_fmac_f64_e32 v[76:77], v[76:77], v[28:29]
	v_xor_b32_e32 v28, 0x80000000, v5
	v_cndmask_b32_e64 v29, v5, v28, s[0:1]
	v_cndmask_b32_e64 v28, v4, v4, s[0:1]
	v_pk_mov_b32 v[60:61], v[28:29], v[28:29] op_sel:[0,1]
	v_fmac_f64_e32 v[60:61], s[24:25], v[12:13]
	v_cndmask_b32_e64 v61, v29, v61, s[2:3]
	v_cndmask_b32_e64 v60, v28, v60, s[2:3]
	v_mul_f64 v[28:29], v[60:61], v[60:61]
	v_fma_f64 v[28:29], -s[18:19], v[28:29], v[28:29]
	v_fmac_f64_e32 v[28:29], s[18:19], v[24:25]
	v_cmp_gt_f64_e32 vcc, s[34:35], v[28:29]
	v_cndmask_b32_e64 v24, 0, 1, vcc
	v_lshlrev_b32_e32 v24, 8, v24
	v_ldexp_f64 v[24:25], v[28:29], v24
	v_rsq_f64_e32 v[62:63], v[24:25]
	v_mul_f64 v[66:67], v[64:65], v[76:77]
	v_fma_f64 v[64:65], -v[74:75], v[66:67], v[64:65]
	v_cndmask_b32_e32 v44, 0, v49, vcc
	v_mul_f64 v[68:69], v[24:25], v[62:63]
	v_mul_f64 v[62:63], v[62:63], 0.5
	v_fma_f64 v[74:75], -v[62:63], v[68:69], 0.5
	v_fmac_f64_e32 v[68:69], v[68:69], v[74:75]
	v_fma_f64 v[78:79], -v[68:69], v[68:69], v[24:25]
	v_fmac_f64_e32 v[62:63], v[62:63], v[74:75]
	v_fmac_f64_e32 v[68:69], v[78:79], v[62:63]
	v_fma_f64 v[74:75], -v[68:69], v[68:69], v[24:25]
	v_fmac_f64_e32 v[68:69], v[74:75], v[62:63]
	v_ldexp_f64 v[62:63], v[68:69], v44
	v_cmp_class_f64_e32 vcc, v[24:25], v1
	v_cndmask_b32_e32 v63, v63, v25, vcc
	v_cndmask_b32_e32 v62, v62, v24, vcc
	v_div_scale_f64 v[68:69], s[52:53], v[40:41], v[40:41], v[62:63]
	v_rcp_f64_e32 v[74:75], v[68:69]
	v_fma_f64 v[24:25], -s[16:17], v[60:61], v[60:61]
	v_fmac_f64_e32 v[24:25], s[16:17], v[20:21]
	s_mov_b64 vcc, s[8:9]
	v_fma_f64 v[20:21], -v[68:69], v[74:75], 1.0
	v_fmac_f64_e32 v[74:75], v[74:75], v[20:21]
	v_fma_f64 v[20:21], -v[68:69], v[74:75], 1.0
	v_div_fmas_f64 v[64:65], v[64:65], v[76:77], v[66:67]
	v_fmac_f64_e32 v[74:75], v[74:75], v[20:21]
	v_div_scale_f64 v[20:21], vcc, v[62:63], v[40:41], v[62:63]
	v_mul_f64 v[60:61], v[20:21], v[74:75]
	v_fma_f64 v[20:21], -v[68:69], v[60:61], v[20:21]
	v_add_f64 v[16:17], v[16:17], -v[18:19]
	s_nop 0
	v_div_fmas_f64 v[20:21], v[20:21], v[74:75], v[60:61]
	v_div_fixup_f64 v[20:21], v[20:21], v[40:41], v[62:63]
	v_add_f64 v[20:21], v[20:21], s[26:27]
	v_mul_f64 v[60:61], v[46:47], v[24:25]
	v_div_scale_f64 v[62:63], s[8:9], v[20:21], v[20:21], v[60:61]
	v_rcp_f64_e32 v[66:67], v[62:63]
	v_div_fixup_f64 v[18:19], v[64:65], v[70:71], v[72:73]
	v_add_f64 v[14:15], v[14:15], -v[18:19]
	global_store_dwordx4 v[58:59], v[14:17], off
	v_fma_f64 v[18:19], -v[62:63], v[66:67], 1.0
	v_fmac_f64_e32 v[66:67], v[66:67], v[18:19]
	v_fma_f64 v[18:19], -v[62:63], v[66:67], 1.0
	v_fmac_f64_e32 v[66:67], v[66:67], v[18:19]
	v_div_scale_f64 v[18:19], vcc, v[60:61], v[20:21], v[60:61]
	v_mul_f64 v[64:65], v[18:19], v[66:67]
	v_fma_f64 v[18:19], -v[62:63], v[64:65], v[18:19]
	s_nop 1
	v_div_fmas_f64 v[18:19], v[18:19], v[66:67], v[64:65]
	v_div_fixup_f64 v[18:19], v[18:19], v[20:21], v[60:61]
	v_add_f64 v[12:13], v[12:13], -v[18:19]
	s_and_b64 vcc, exec, s[6:7]
	global_store_dwordx4 v[58:59], v[10:13], off offset:16
	s_cbranch_vccnz .LBB1_8
; %bb.18:                               ;   in Loop: Header=BB1_9 Depth=1
	global_store_dwordx4 v[56:57], v[6:9], off
	global_store_dwordx4 v[56:57], v[2:5], off offset:16
	s_branch .LBB1_8
.LBB1_19:
	s_or_b64 exec, exec, s[28:29]
	s_mov_b64 s[2:3], 0
.LBB1_20:
	s_andn2_b64 vcc, exec, s[2:3]
	s_cbranch_vccnz .LBB1_82
; %bb.21:
	v_cmp_lt_i64_e64 s[2:3], s[14:15], 1
	s_and_b64 vcc, exec, s[2:3]
	s_cbranch_vccnz .LBB1_82
; %bb.22:
	s_load_dword s2, s[4:5], 0xd64
	v_mov_b32_e32 v2, 0x10000
	v_mov_b32_e32 v3, 0
	v_cmp_lt_u64_e32 vcc, s[14:15], v[2:3]
	v_lshlrev_b32_e32 v32, 3, v0
	s_waitcnt lgkmcnt(0)
	s_and_b32 s6, s2, 0xffff
	v_div_scale_f64 v[2:3], s[2:3], v[42:43], v[42:43], v[38:39]
	v_rcp_f64_e32 v[4:5], v[2:3]
	s_and_b64 s[2:3], vcc, exec
	v_mov_b32_e32 v33, 0
	v_mov_b32_e32 v21, s37
	v_fma_f64 v[6:7], -v[2:3], v[4:5], 1.0
	v_fmac_f64_e32 v[4:5], v[4:5], v[6:7]
	v_fma_f64 v[6:7], -v[2:3], v[4:5], 1.0
	v_fmac_f64_e32 v[4:5], v[4:5], v[6:7]
	v_div_scale_f64 v[6:7], vcc, v[38:39], v[42:43], v[38:39]
	v_mul_f64 v[8:9], v[6:7], v[4:5]
	v_fma_f64 v[2:3], -v[2:3], v[8:9], v[6:7]
	v_mad_u64_u32 v[12:13], s[4:5], s6, 24, v[32:33]
	s_nop 0
	v_div_fmas_f64 v[2:3], v[2:3], v[4:5], v[8:9]
	v_add_co_u32_e32 v4, vcc, s36, v32
	v_addc_co_u32_e32 v1, vcc, 0, v21, vcc
	v_add_co_u32_e32 v6, vcc, s36, v12
	v_addc_co_u32_e32 v5, vcc, v21, v13, vcc
	v_mov_b32_e32 v25, s13
	v_add_co_u32_e32 v8, vcc, s12, v12
	v_addc_co_u32_e32 v7, vcc, v25, v13, vcc
	v_mov_b32_e32 v29, s39
	;; [unrolled: 3-line block ×3, first 2 shown]
	v_add_co_u32_e32 v12, vcc, s40, v12
	s_mul_i32 s8, s6, 3
	v_addc_co_u32_e32 v11, vcc, v36, v13, vcc
	s_cselect_b32 s29, s15, 0
	s_cselect_b32 s28, s14, 0x10000
	s_lshl_b32 s7, s6, 1
	v_add_co_u32_e32 v35, vcc, s8, v0
	s_cmp_lg_u64 s[20:21], 0
	v_addc_co_u32_e64 v72, s[4:5], 0, 0, vcc
	s_cselect_b64 s[34:35], -1, 0
	s_lshl_b32 s4, s6, 4
	v_add_co_u32_e32 v19, vcc, s4, v32
	v_addc_co_u32_e64 v22, s[4:5], 0, 0, vcc
	v_add_co_u32_e32 v14, vcc, s36, v19
	v_addc_co_u32_e32 v13, vcc, v21, v22, vcc
	v_add_co_u32_e32 v16, vcc, s12, v19
	v_addc_co_u32_e32 v15, vcc, v25, v22, vcc
	;; [unrolled: 2-line block ×4, first 2 shown]
	v_add_co_u32_e32 v73, vcc, s7, v0
	v_addc_co_u32_e64 v74, s[4:5], 0, 0, vcc
	v_add_co_u32_e32 v75, vcc, s6, v0
	v_lshlrev_b32_e32 v33, 3, v75
	v_addc_co_u32_e64 v76, s[4:5], 0, 0, vcc
	v_add_co_u32_e32 v22, vcc, s36, v33
	v_addc_co_u32_e32 v21, vcc, 0, v21, vcc
	v_add_co_u32_e32 v24, vcc, s12, v32
	v_addc_co_u32_e32 v23, vcc, 0, v25, vcc
	;; [unrolled: 2-line block ×6, first 2 shown]
	s_mov_b32 s36, 0
	v_add_co_u32_e32 v34, vcc, s40, v33
	s_mov_b32 s33, 0
	s_mov_b64 s[30:31], 0
	v_cmp_neq_f64_e64 s[2:3], s[24:25], 0
	v_div_fixup_f64 v[2:3], v[2:3], v[42:43], v[38:39]
	s_lshl_b32 s42, s6, 2
	s_lshl_b32 s43, s6, 5
	s_brev_b32 s37, 8
	v_addc_co_u32_e32 v33, vcc, 0, v36, vcc
	v_mov_b32_e32 v77, 0x260
	v_mov_b32_e32 v78, 0xffffff80
	s_branch .LBB1_24
.LBB1_23:                               ;   in Loop: Header=BB1_24 Depth=1
	s_or_b64 exec, exec, s[4:5]
	s_add_u32 s30, s30, s42
	s_addc_u32 s31, s31, 0
	v_pk_mov_b32 v[36:37], s[14:15], s[14:15] op_sel:[0,1]
	v_cmp_ge_i64_e32 vcc, s[30:31], v[36:37]
	v_mov_b32_e32 v36, 0xffff
	v_mov_b32_e32 v37, 0
	v_cmp_gt_u64_e64 s[4:5], s[30:31], v[36:37]
	s_or_b64 s[4:5], vcc, s[4:5]
	v_mov_b32_e32 v36, s33
	v_add_co_u32_e32 v4, vcc, s43, v4
	v_addc_co_u32_e32 v1, vcc, v1, v36, vcc
	v_add_co_u32_e32 v24, vcc, s43, v24
	v_addc_co_u32_e32 v23, vcc, v23, v36, vcc
	;; [unrolled: 2-line block ×16, first 2 shown]
	s_and_b64 vcc, exec, s[4:5]
	s_cbranch_vccnz .LBB1_82
.LBB1_24:                               ; =>This Inner Loop Header: Depth=1
	v_mov_b32_e32 v37, s31
	v_add_co_u32_e32 v36, vcc, s30, v0
	v_addc_co_u32_e32 v37, vcc, 0, v37, vcc
	v_pk_mov_b32 v[50:51], 0, 0
	v_cmp_gt_u64_e64 s[4:5], s[28:29], v[36:37]
	v_pk_mov_b32 v[56:57], v[50:51], v[50:51] op_sel:[0,1]
	v_pk_mov_b32 v[36:37], v[50:51], v[50:51] op_sel:[0,1]
	s_and_saveexec_b64 s[6:7], s[4:5]
	s_cbranch_execz .LBB1_26
; %bb.25:                               ;   in Loop: Header=BB1_24 Depth=1
	v_mov_b32_e32 v36, s23
	v_add_co_u32_e32 v38, vcc, s22, v24
	v_addc_co_u32_e32 v39, vcc, v23, v36, vcc
	v_add_co_u32_e32 v42, vcc, s22, v4
	v_addc_co_u32_e32 v43, vcc, v1, v36, vcc
	global_load_dwordx2 v[56:57], v[42:43], off
	global_load_dwordx2 v[36:37], v[38:39], off
.LBB1_26:                               ;   in Loop: Header=BB1_24 Depth=1
	s_or_b64 exec, exec, s[6:7]
	v_pk_mov_b32 v[70:71], v[50:51], v[50:51] op_sel:[0,1]
	s_and_saveexec_b64 s[6:7], s[4:5]
	s_cbranch_execz .LBB1_28
; %bb.27:                               ;   in Loop: Header=BB1_24 Depth=1
	v_mov_b32_e32 v43, s23
	v_add_co_u32_e32 v38, vcc, s22, v32
	v_addc_co_u32_e32 v39, vcc, v31, v43, vcc
	v_add_co_u32_e32 v42, vcc, s22, v28
	v_addc_co_u32_e32 v43, vcc, v27, v43, vcc
	global_load_dwordx2 v[50:51], v[42:43], off
	global_load_dwordx2 v[70:71], v[38:39], off
.LBB1_28:                               ;   in Loop: Header=BB1_24 Depth=1
	s_or_b64 exec, exec, s[6:7]
	v_mov_b32_e32 v39, s31
	v_add_co_u32_e32 v38, vcc, s30, v75
	v_addc_co_u32_e32 v39, vcc, v76, v39, vcc
	v_pk_mov_b32 v[64:65], 0, 0
	v_cmp_gt_u64_e64 s[6:7], s[28:29], v[38:39]
	v_pk_mov_b32 v[52:53], v[64:65], v[64:65] op_sel:[0,1]
	v_pk_mov_b32 v[38:39], v[64:65], v[64:65] op_sel:[0,1]
	s_and_saveexec_b64 s[8:9], s[6:7]
	s_cbranch_execz .LBB1_30
; %bb.29:                               ;   in Loop: Header=BB1_24 Depth=1
	v_mov_b32_e32 v38, s23
	v_add_co_u32_e32 v42, vcc, s22, v26
	v_addc_co_u32_e32 v43, vcc, v25, v38, vcc
	v_add_co_u32_e32 v44, vcc, s22, v22
	v_addc_co_u32_e32 v45, vcc, v21, v38, vcc
	global_load_dwordx2 v[52:53], v[44:45], off
	global_load_dwordx2 v[38:39], v[42:43], off
.LBB1_30:                               ;   in Loop: Header=BB1_24 Depth=1
	s_or_b64 exec, exec, s[8:9]
	v_pk_mov_b32 v[68:69], v[64:65], v[64:65] op_sel:[0,1]
	s_and_saveexec_b64 s[8:9], s[6:7]
	s_cbranch_execz .LBB1_32
; %bb.31:                               ;   in Loop: Header=BB1_24 Depth=1
	v_mov_b32_e32 v45, s23
	v_add_co_u32_e32 v42, vcc, s22, v34
	v_addc_co_u32_e32 v43, vcc, v33, v45, vcc
	v_add_co_u32_e32 v44, vcc, s22, v30
	v_addc_co_u32_e32 v45, vcc, v29, v45, vcc
	global_load_dwordx2 v[64:65], v[44:45], off
	global_load_dwordx2 v[68:69], v[42:43], off
.LBB1_32:                               ;   in Loop: Header=BB1_24 Depth=1
	s_or_b64 exec, exec, s[8:9]
	;; [unrolled: 32-line block ×4, first 2 shown]
	v_cndmask_b32_e64 v58, 0, 1, s[34:35]
	v_cmp_ne_u32_e64 s[12:13], 1, v58
	s_andn2_b64 vcc, exec, s[34:35]
	s_cbranch_vccnz .LBB1_42
; %bb.41:                               ;   in Loop: Header=BB1_24 Depth=1
	s_load_dword s38, s[20:21], 0x0
	s_waitcnt lgkmcnt(0)
	v_cvt_f64_f32_e32 v[58:59], s38
	s_waitcnt vmcnt(0)
	v_div_scale_f64 v[80:81], s[38:39], v[58:59], v[58:59], v[36:37]
	v_rcp_f64_e32 v[82:83], v[80:81]
	v_div_scale_f64 v[84:85], vcc, v[36:37], v[58:59], v[36:37]
	v_fma_f64 v[86:87], -v[80:81], v[82:83], 1.0
	v_fmac_f64_e32 v[82:83], v[82:83], v[86:87]
	v_fma_f64 v[86:87], -v[80:81], v[82:83], 1.0
	v_fmac_f64_e32 v[82:83], v[82:83], v[86:87]
	v_mul_f64 v[86:87], v[84:85], v[82:83]
	v_fma_f64 v[80:81], -v[80:81], v[86:87], v[84:85]
	v_div_fmas_f64 v[80:81], v[80:81], v[82:83], v[86:87]
	v_div_fixup_f64 v[36:37], v[80:81], v[58:59], v[36:37]
.LBB1_42:                               ;   in Loop: Header=BB1_24 Depth=1
	s_and_b64 vcc, exec, s[12:13]
	s_cbranch_vccnz .LBB1_44
; %bb.43:                               ;   in Loop: Header=BB1_24 Depth=1
	s_load_dword s38, s[20:21], 0x0
	s_waitcnt lgkmcnt(0)
	v_cvt_f64_f32_e32 v[58:59], s38
	s_waitcnt vmcnt(0)
	v_div_scale_f64 v[80:81], s[38:39], v[58:59], v[58:59], v[38:39]
	v_rcp_f64_e32 v[82:83], v[80:81]
	v_div_scale_f64 v[84:85], vcc, v[38:39], v[58:59], v[38:39]
	v_fma_f64 v[86:87], -v[80:81], v[82:83], 1.0
	v_fmac_f64_e32 v[82:83], v[82:83], v[86:87]
	v_fma_f64 v[86:87], -v[80:81], v[82:83], 1.0
	v_fmac_f64_e32 v[82:83], v[82:83], v[86:87]
	v_mul_f64 v[86:87], v[84:85], v[82:83]
	v_fma_f64 v[80:81], -v[80:81], v[86:87], v[84:85]
	v_div_fmas_f64 v[80:81], v[80:81], v[82:83], v[86:87]
	v_div_fixup_f64 v[38:39], v[80:81], v[58:59], v[38:39]
.LBB1_44:                               ;   in Loop: Header=BB1_24 Depth=1
	s_and_b64 vcc, exec, s[12:13]
	;; [unrolled: 19-line block ×3, first 2 shown]
	s_cbranch_vccnz .LBB1_48
; %bb.47:                               ;   in Loop: Header=BB1_24 Depth=1
	s_load_dword s38, s[20:21], 0x0
	s_waitcnt lgkmcnt(0)
	v_cvt_f64_f32_e32 v[58:59], s38
	s_waitcnt vmcnt(0)
	v_div_scale_f64 v[80:81], s[38:39], v[58:59], v[58:59], v[44:45]
	v_rcp_f64_e32 v[82:83], v[80:81]
	v_div_scale_f64 v[84:85], vcc, v[44:45], v[58:59], v[44:45]
	v_fma_f64 v[86:87], -v[80:81], v[82:83], 1.0
	v_fmac_f64_e32 v[82:83], v[82:83], v[86:87]
	v_fma_f64 v[86:87], -v[80:81], v[82:83], 1.0
	v_fmac_f64_e32 v[82:83], v[82:83], v[86:87]
	v_mul_f64 v[86:87], v[84:85], v[82:83]
	v_fma_f64 v[80:81], -v[80:81], v[86:87], v[84:85]
	v_div_fmas_f64 v[80:81], v[80:81], v[82:83], v[86:87]
	v_div_fixup_f64 v[44:45], v[80:81], v[58:59], v[44:45]
.LBB1_48:                               ;   in Loop: Header=BB1_24 Depth=1
	s_waitcnt vmcnt(0)
	v_xor_b32_e32 v58, 0x80000000, v37
	v_cndmask_b32_e64 v59, v37, v58, s[0:1]
	v_cndmask_b32_e64 v58, v36, v36, s[0:1]
	v_pk_mov_b32 v[80:81], v[58:59], v[58:59] op_sel:[0,1]
	v_fmac_f64_e32 v[80:81], s[24:25], v[56:57]
	v_cndmask_b32_e64 v81, v59, v81, s[2:3]
	v_cndmask_b32_e64 v80, v58, v80, s[2:3]
	v_fma_f64 v[58:59], -s[16:17], v[80:81], v[80:81]
	v_fmac_f64_e32 v[58:59], s[16:17], v[50:51]
	v_mul_f64 v[50:51], v[80:81], v[80:81]
	v_fma_f64 v[50:51], -s[18:19], v[50:51], v[50:51]
	v_fmac_f64_e32 v[50:51], s[18:19], v[70:71]
	s_and_saveexec_b64 s[38:39], s[4:5]
	s_cbranch_execz .LBB1_50
; %bb.49:                               ;   in Loop: Header=BB1_24 Depth=1
	v_cmp_gt_f64_e32 vcc, s[36:37], v[50:51]
	v_cndmask_b32_e64 v70, 0, 1, vcc
	v_lshlrev_b32_e32 v70, 8, v70
	v_ldexp_f64 v[70:71], v[50:51], v70
	v_rsq_f64_e32 v[80:81], v[70:71]
	v_cndmask_b32_e32 v79, 0, v78, vcc
	v_cmp_class_f64_e32 vcc, v[70:71], v77
	v_mul_f64 v[82:83], v[70:71], v[80:81]
	v_mul_f64 v[80:81], v[80:81], 0.5
	v_fma_f64 v[84:85], -v[80:81], v[82:83], 0.5
	v_fmac_f64_e32 v[82:83], v[82:83], v[84:85]
	v_fmac_f64_e32 v[80:81], v[80:81], v[84:85]
	v_fma_f64 v[84:85], -v[82:83], v[82:83], v[70:71]
	v_fmac_f64_e32 v[82:83], v[84:85], v[80:81]
	v_fma_f64 v[84:85], -v[82:83], v[82:83], v[70:71]
	v_fmac_f64_e32 v[82:83], v[84:85], v[80:81]
	v_ldexp_f64 v[80:81], v[82:83], v79
	v_cndmask_b32_e32 v71, v81, v71, vcc
	v_cndmask_b32_e32 v70, v80, v70, vcc
	v_div_scale_f64 v[80:81], s[40:41], v[40:41], v[40:41], v[70:71]
	v_rcp_f64_e32 v[82:83], v[80:81]
	v_fma_f64 v[84:85], -v[80:81], v[82:83], 1.0
	v_fmac_f64_e32 v[82:83], v[82:83], v[84:85]
	v_fma_f64 v[84:85], -v[80:81], v[82:83], 1.0
	v_fmac_f64_e32 v[82:83], v[82:83], v[84:85]
	v_div_scale_f64 v[84:85], vcc, v[70:71], v[40:41], v[70:71]
	v_mul_f64 v[86:87], v[84:85], v[82:83]
	v_fma_f64 v[80:81], -v[80:81], v[86:87], v[84:85]
	s_nop 1
	v_div_fmas_f64 v[80:81], v[80:81], v[82:83], v[86:87]
	v_div_fixup_f64 v[70:71], v[80:81], v[40:41], v[70:71]
	v_add_f64 v[70:71], v[70:71], s[26:27]
	v_mul_f64 v[80:81], v[2:3], v[58:59]
	v_div_scale_f64 v[82:83], s[40:41], v[70:71], v[70:71], v[80:81]
	v_rcp_f64_e32 v[84:85], v[82:83]
	v_fma_f64 v[86:87], -v[82:83], v[84:85], 1.0
	v_fmac_f64_e32 v[84:85], v[84:85], v[86:87]
	v_fma_f64 v[86:87], -v[82:83], v[84:85], 1.0
	v_fmac_f64_e32 v[84:85], v[84:85], v[86:87]
	v_div_scale_f64 v[86:87], vcc, v[80:81], v[70:71], v[80:81]
	v_mul_f64 v[88:89], v[86:87], v[84:85]
	v_fma_f64 v[82:83], -v[82:83], v[88:89], v[86:87]
	s_nop 1
	v_div_fmas_f64 v[82:83], v[82:83], v[84:85], v[88:89]
	v_div_fixup_f64 v[70:71], v[82:83], v[70:71], v[80:81]
	v_add_f64 v[56:57], v[56:57], -v[70:71]
	v_mov_b32_e32 v71, s23
	v_add_co_u32_e32 v70, vcc, s22, v4
	v_addc_co_u32_e32 v71, vcc, v1, v71, vcc
	global_store_dwordx2 v[70:71], v[56:57], off
.LBB1_50:                               ;   in Loop: Header=BB1_24 Depth=1
	s_or_b64 exec, exec, s[38:39]
	v_xor_b32_e32 v56, 0x80000000, v39
	v_cndmask_b32_e64 v57, v39, v56, s[0:1]
	v_cndmask_b32_e64 v56, v38, v38, s[0:1]
	v_pk_mov_b32 v[70:71], v[56:57], v[56:57] op_sel:[0,1]
	v_fmac_f64_e32 v[70:71], s[24:25], v[52:53]
	v_cndmask_b32_e64 v57, v57, v71, s[2:3]
	v_cndmask_b32_e64 v56, v56, v70, s[2:3]
	v_fma_f64 v[70:71], -s[16:17], v[56:57], v[56:57]
	v_mul_f64 v[56:57], v[56:57], v[56:57]
	v_fma_f64 v[56:57], -s[18:19], v[56:57], v[56:57]
	v_fmac_f64_e32 v[70:71], s[16:17], v[64:65]
	v_fmac_f64_e32 v[56:57], s[18:19], v[68:69]
	s_and_saveexec_b64 s[38:39], s[6:7]
	s_cbranch_execz .LBB1_52
; %bb.51:                               ;   in Loop: Header=BB1_24 Depth=1
	v_cmp_gt_f64_e32 vcc, s[36:37], v[56:57]
	v_cndmask_b32_e64 v64, 0, 1, vcc
	v_lshlrev_b32_e32 v64, 8, v64
	v_ldexp_f64 v[64:65], v[56:57], v64
	v_rsq_f64_e32 v[68:69], v[64:65]
	v_mul_f64 v[80:81], v[64:65], v[68:69]
	v_mul_f64 v[68:69], v[68:69], 0.5
	v_fma_f64 v[82:83], -v[68:69], v[80:81], 0.5
	v_fmac_f64_e32 v[80:81], v[80:81], v[82:83]
	v_fmac_f64_e32 v[68:69], v[68:69], v[82:83]
	v_fma_f64 v[82:83], -v[80:81], v[80:81], v[64:65]
	v_fmac_f64_e32 v[80:81], v[82:83], v[68:69]
	v_fma_f64 v[82:83], -v[80:81], v[80:81], v[64:65]
	v_fmac_f64_e32 v[80:81], v[82:83], v[68:69]
	v_cndmask_b32_e32 v68, 0, v78, vcc
	v_ldexp_f64 v[68:69], v[80:81], v68
	v_cmp_class_f64_e32 vcc, v[64:65], v77
	v_cndmask_b32_e32 v65, v69, v65, vcc
	v_cndmask_b32_e32 v64, v68, v64, vcc
	v_div_scale_f64 v[68:69], s[40:41], v[40:41], v[40:41], v[64:65]
	v_rcp_f64_e32 v[80:81], v[68:69]
	v_fma_f64 v[82:83], -v[68:69], v[80:81], 1.0
	v_fmac_f64_e32 v[80:81], v[80:81], v[82:83]
	v_fma_f64 v[82:83], -v[68:69], v[80:81], 1.0
	v_fmac_f64_e32 v[80:81], v[80:81], v[82:83]
	v_div_scale_f64 v[82:83], vcc, v[64:65], v[40:41], v[64:65]
	v_mul_f64 v[84:85], v[82:83], v[80:81]
	v_fma_f64 v[68:69], -v[68:69], v[84:85], v[82:83]
	s_nop 1
	v_div_fmas_f64 v[68:69], v[68:69], v[80:81], v[84:85]
	v_div_fixup_f64 v[64:65], v[68:69], v[40:41], v[64:65]
	v_add_f64 v[64:65], v[64:65], s[26:27]
	v_mul_f64 v[68:69], v[2:3], v[70:71]
	v_div_scale_f64 v[80:81], s[40:41], v[64:65], v[64:65], v[68:69]
	v_rcp_f64_e32 v[82:83], v[80:81]
	v_fma_f64 v[84:85], -v[80:81], v[82:83], 1.0
	v_fmac_f64_e32 v[82:83], v[82:83], v[84:85]
	v_fma_f64 v[84:85], -v[80:81], v[82:83], 1.0
	v_fmac_f64_e32 v[82:83], v[82:83], v[84:85]
	v_div_scale_f64 v[84:85], vcc, v[68:69], v[64:65], v[68:69]
	v_mul_f64 v[86:87], v[84:85], v[82:83]
	v_fma_f64 v[80:81], -v[80:81], v[86:87], v[84:85]
	s_nop 1
	v_div_fmas_f64 v[80:81], v[80:81], v[82:83], v[86:87]
	v_div_fixup_f64 v[64:65], v[80:81], v[64:65], v[68:69]
	v_add_f64 v[52:53], v[52:53], -v[64:65]
	v_mov_b32_e32 v65, s23
	v_add_co_u32_e32 v64, vcc, s22, v22
	v_addc_co_u32_e32 v65, vcc, v21, v65, vcc
	global_store_dwordx2 v[64:65], v[52:53], off
.LBB1_52:                               ;   in Loop: Header=BB1_24 Depth=1
	s_or_b64 exec, exec, s[38:39]
	v_xor_b32_e32 v52, 0x80000000, v43
	v_cndmask_b32_e64 v53, v43, v52, s[0:1]
	v_cndmask_b32_e64 v52, v42, v42, s[0:1]
	v_pk_mov_b32 v[64:65], v[52:53], v[52:53] op_sel:[0,1]
	v_fmac_f64_e32 v[64:65], s[24:25], v[48:49]
	v_cndmask_b32_e64 v53, v53, v65, s[2:3]
	v_cndmask_b32_e64 v52, v52, v64, s[2:3]
	v_fma_f64 v[64:65], -s[16:17], v[52:53], v[52:53]
	v_mul_f64 v[52:53], v[52:53], v[52:53]
	v_fma_f64 v[52:53], -s[18:19], v[52:53], v[52:53]
	v_fmac_f64_e32 v[64:65], s[16:17], v[60:61]
	v_fmac_f64_e32 v[52:53], s[18:19], v[66:67]
	s_and_saveexec_b64 s[38:39], s[8:9]
	s_cbranch_execz .LBB1_54
; %bb.53:                               ;   in Loop: Header=BB1_24 Depth=1
	v_cmp_gt_f64_e32 vcc, s[36:37], v[52:53]
	v_cndmask_b32_e64 v60, 0, 1, vcc
	v_lshlrev_b32_e32 v60, 8, v60
	v_ldexp_f64 v[60:61], v[52:53], v60
	v_rsq_f64_e32 v[66:67], v[60:61]
	v_mul_f64 v[68:69], v[60:61], v[66:67]
	v_mul_f64 v[66:67], v[66:67], 0.5
	v_fma_f64 v[80:81], -v[66:67], v[68:69], 0.5
	v_fmac_f64_e32 v[68:69], v[68:69], v[80:81]
	v_fmac_f64_e32 v[66:67], v[66:67], v[80:81]
	v_fma_f64 v[80:81], -v[68:69], v[68:69], v[60:61]
	v_fmac_f64_e32 v[68:69], v[80:81], v[66:67]
	v_fma_f64 v[80:81], -v[68:69], v[68:69], v[60:61]
	v_fmac_f64_e32 v[68:69], v[80:81], v[66:67]
	v_cndmask_b32_e32 v66, 0, v78, vcc
	v_ldexp_f64 v[66:67], v[68:69], v66
	v_cmp_class_f64_e32 vcc, v[60:61], v77
	v_cndmask_b32_e32 v61, v67, v61, vcc
	v_cndmask_b32_e32 v60, v66, v60, vcc
	v_div_scale_f64 v[66:67], s[40:41], v[40:41], v[40:41], v[60:61]
	v_rcp_f64_e32 v[68:69], v[66:67]
	v_fma_f64 v[80:81], -v[66:67], v[68:69], 1.0
	v_fmac_f64_e32 v[68:69], v[68:69], v[80:81]
	v_fma_f64 v[80:81], -v[66:67], v[68:69], 1.0
	v_fmac_f64_e32 v[68:69], v[68:69], v[80:81]
	v_div_scale_f64 v[80:81], vcc, v[60:61], v[40:41], v[60:61]
	v_mul_f64 v[82:83], v[80:81], v[68:69]
	v_fma_f64 v[66:67], -v[66:67], v[82:83], v[80:81]
	s_nop 1
	v_div_fmas_f64 v[66:67], v[66:67], v[68:69], v[82:83]
	v_div_fixup_f64 v[60:61], v[66:67], v[40:41], v[60:61]
	v_add_f64 v[60:61], v[60:61], s[26:27]
	v_mul_f64 v[66:67], v[2:3], v[64:65]
	v_div_scale_f64 v[68:69], s[40:41], v[60:61], v[60:61], v[66:67]
	v_rcp_f64_e32 v[80:81], v[68:69]
	v_fma_f64 v[82:83], -v[68:69], v[80:81], 1.0
	v_fmac_f64_e32 v[80:81], v[80:81], v[82:83]
	v_fma_f64 v[82:83], -v[68:69], v[80:81], 1.0
	v_fmac_f64_e32 v[80:81], v[80:81], v[82:83]
	v_div_scale_f64 v[82:83], vcc, v[66:67], v[60:61], v[66:67]
	v_mul_f64 v[84:85], v[82:83], v[80:81]
	v_fma_f64 v[68:69], -v[68:69], v[84:85], v[82:83]
	s_nop 1
	v_div_fmas_f64 v[68:69], v[68:69], v[80:81], v[84:85]
	v_div_fixup_f64 v[60:61], v[68:69], v[60:61], v[66:67]
	v_add_f64 v[48:49], v[48:49], -v[60:61]
	v_mov_b32_e32 v61, s23
	v_add_co_u32_e32 v60, vcc, s22, v14
	v_addc_co_u32_e32 v61, vcc, v13, v61, vcc
	global_store_dwordx2 v[60:61], v[48:49], off
.LBB1_54:                               ;   in Loop: Header=BB1_24 Depth=1
	s_or_b64 exec, exec, s[38:39]
	v_xor_b32_e32 v48, 0x80000000, v45
	v_cndmask_b32_e64 v49, v45, v48, s[0:1]
	v_cndmask_b32_e64 v48, v44, v44, s[0:1]
	v_pk_mov_b32 v[60:61], v[48:49], v[48:49] op_sel:[0,1]
	v_fmac_f64_e32 v[60:61], s[24:25], v[46:47]
	v_cndmask_b32_e64 v49, v49, v61, s[2:3]
	v_cndmask_b32_e64 v48, v48, v60, s[2:3]
	v_fma_f64 v[60:61], -s[16:17], v[48:49], v[48:49]
	v_mul_f64 v[48:49], v[48:49], v[48:49]
	v_fma_f64 v[48:49], -s[18:19], v[48:49], v[48:49]
	v_fmac_f64_e32 v[60:61], s[16:17], v[54:55]
	v_fmac_f64_e32 v[48:49], s[18:19], v[62:63]
	s_and_saveexec_b64 s[38:39], s[10:11]
	s_cbranch_execz .LBB1_56
; %bb.55:                               ;   in Loop: Header=BB1_24 Depth=1
	v_cmp_gt_f64_e32 vcc, s[36:37], v[48:49]
	v_cndmask_b32_e64 v54, 0, 1, vcc
	v_lshlrev_b32_e32 v54, 8, v54
	v_ldexp_f64 v[54:55], v[48:49], v54
	v_rsq_f64_e32 v[62:63], v[54:55]
	v_mul_f64 v[66:67], v[54:55], v[62:63]
	v_mul_f64 v[62:63], v[62:63], 0.5
	v_fma_f64 v[68:69], -v[62:63], v[66:67], 0.5
	v_fmac_f64_e32 v[66:67], v[66:67], v[68:69]
	v_fmac_f64_e32 v[62:63], v[62:63], v[68:69]
	v_fma_f64 v[68:69], -v[66:67], v[66:67], v[54:55]
	v_fmac_f64_e32 v[66:67], v[68:69], v[62:63]
	v_fma_f64 v[68:69], -v[66:67], v[66:67], v[54:55]
	v_fmac_f64_e32 v[66:67], v[68:69], v[62:63]
	v_cndmask_b32_e32 v62, 0, v78, vcc
	v_ldexp_f64 v[62:63], v[66:67], v62
	v_cmp_class_f64_e32 vcc, v[54:55], v77
	v_cndmask_b32_e32 v55, v63, v55, vcc
	v_cndmask_b32_e32 v54, v62, v54, vcc
	v_div_scale_f64 v[62:63], s[40:41], v[40:41], v[40:41], v[54:55]
	v_rcp_f64_e32 v[66:67], v[62:63]
	v_fma_f64 v[68:69], -v[62:63], v[66:67], 1.0
	v_fmac_f64_e32 v[66:67], v[66:67], v[68:69]
	v_fma_f64 v[68:69], -v[62:63], v[66:67], 1.0
	v_fmac_f64_e32 v[66:67], v[66:67], v[68:69]
	v_div_scale_f64 v[68:69], vcc, v[54:55], v[40:41], v[54:55]
	v_mul_f64 v[80:81], v[68:69], v[66:67]
	v_fma_f64 v[62:63], -v[62:63], v[80:81], v[68:69]
	s_nop 1
	v_div_fmas_f64 v[62:63], v[62:63], v[66:67], v[80:81]
	v_div_fixup_f64 v[54:55], v[62:63], v[40:41], v[54:55]
	v_add_f64 v[54:55], v[54:55], s[26:27]
	v_mul_f64 v[62:63], v[2:3], v[60:61]
	v_div_scale_f64 v[66:67], s[40:41], v[54:55], v[54:55], v[62:63]
	v_rcp_f64_e32 v[68:69], v[66:67]
	v_fma_f64 v[80:81], -v[66:67], v[68:69], 1.0
	v_fmac_f64_e32 v[68:69], v[68:69], v[80:81]
	v_fma_f64 v[80:81], -v[66:67], v[68:69], 1.0
	v_fmac_f64_e32 v[68:69], v[68:69], v[80:81]
	v_div_scale_f64 v[80:81], vcc, v[62:63], v[54:55], v[62:63]
	v_mul_f64 v[82:83], v[80:81], v[68:69]
	v_fma_f64 v[66:67], -v[66:67], v[82:83], v[80:81]
	s_nop 1
	v_div_fmas_f64 v[66:67], v[66:67], v[68:69], v[82:83]
	v_div_fixup_f64 v[54:55], v[66:67], v[54:55], v[62:63]
	v_add_f64 v[46:47], v[46:47], -v[54:55]
	v_mov_b32_e32 v55, s23
	v_add_co_u32_e32 v54, vcc, s22, v6
	v_addc_co_u32_e32 v55, vcc, v5, v55, vcc
	global_store_dwordx2 v[54:55], v[46:47], off
.LBB1_56:                               ;   in Loop: Header=BB1_24 Depth=1
	s_or_b64 exec, exec, s[38:39]
	s_and_b64 vcc, exec, s[12:13]
	s_cbranch_vccnz .LBB1_63
; %bb.57:                               ;   in Loop: Header=BB1_24 Depth=1
	s_and_saveexec_b64 s[12:13], s[4:5]
	s_cbranch_execnz .LBB1_79
; %bb.58:                               ;   in Loop: Header=BB1_24 Depth=1
	s_or_b64 exec, exec, s[12:13]
	s_and_saveexec_b64 s[12:13], s[6:7]
	s_cbranch_execnz .LBB1_80
.LBB1_59:                               ;   in Loop: Header=BB1_24 Depth=1
	s_or_b64 exec, exec, s[12:13]
	s_and_saveexec_b64 s[12:13], s[8:9]
	s_cbranch_execnz .LBB1_81
.LBB1_60:                               ;   in Loop: Header=BB1_24 Depth=1
	s_or_b64 exec, exec, s[12:13]
	s_and_saveexec_b64 s[12:13], s[10:11]
	s_cbranch_execz .LBB1_62
.LBB1_61:                               ;   in Loop: Header=BB1_24 Depth=1
	v_mov_b32_e32 v37, s23
	v_add_co_u32_e32 v36, vcc, s22, v8
	v_addc_co_u32_e32 v37, vcc, v7, v37, vcc
	global_store_dwordx2 v[36:37], v[44:45], off
.LBB1_62:                               ;   in Loop: Header=BB1_24 Depth=1
	s_or_b64 exec, exec, s[12:13]
.LBB1_63:                               ;   in Loop: Header=BB1_24 Depth=1
	s_and_saveexec_b64 s[12:13], s[4:5]
	s_cbranch_execnz .LBB1_71
; %bb.64:                               ;   in Loop: Header=BB1_24 Depth=1
	s_or_b64 exec, exec, s[12:13]
	s_and_saveexec_b64 s[12:13], s[6:7]
	s_cbranch_execnz .LBB1_72
.LBB1_65:                               ;   in Loop: Header=BB1_24 Depth=1
	s_or_b64 exec, exec, s[12:13]
	s_and_saveexec_b64 s[12:13], s[8:9]
	s_cbranch_execnz .LBB1_73
.LBB1_66:                               ;   in Loop: Header=BB1_24 Depth=1
	s_or_b64 exec, exec, s[12:13]
	s_and_saveexec_b64 s[12:13], s[10:11]
	s_cbranch_execnz .LBB1_74
.LBB1_67:                               ;   in Loop: Header=BB1_24 Depth=1
	s_or_b64 exec, exec, s[12:13]
	s_and_saveexec_b64 s[12:13], s[4:5]
	s_cbranch_execnz .LBB1_75
.LBB1_68:                               ;   in Loop: Header=BB1_24 Depth=1
	s_or_b64 exec, exec, s[12:13]
	s_and_saveexec_b64 s[4:5], s[6:7]
	s_cbranch_execnz .LBB1_76
.LBB1_69:                               ;   in Loop: Header=BB1_24 Depth=1
	s_or_b64 exec, exec, s[4:5]
	s_and_saveexec_b64 s[4:5], s[8:9]
	s_cbranch_execnz .LBB1_77
.LBB1_70:                               ;   in Loop: Header=BB1_24 Depth=1
	s_or_b64 exec, exec, s[4:5]
	s_and_saveexec_b64 s[4:5], s[10:11]
	s_cbranch_execz .LBB1_23
	s_branch .LBB1_78
.LBB1_71:                               ;   in Loop: Header=BB1_24 Depth=1
	v_mov_b32_e32 v37, s23
	v_add_co_u32_e32 v36, vcc, s22, v28
	v_addc_co_u32_e32 v37, vcc, v27, v37, vcc
	global_store_dwordx2 v[36:37], v[58:59], off
	s_or_b64 exec, exec, s[12:13]
	s_and_saveexec_b64 s[12:13], s[6:7]
	s_cbranch_execz .LBB1_65
.LBB1_72:                               ;   in Loop: Header=BB1_24 Depth=1
	v_mov_b32_e32 v37, s23
	v_add_co_u32_e32 v36, vcc, s22, v30
	v_addc_co_u32_e32 v37, vcc, v29, v37, vcc
	global_store_dwordx2 v[36:37], v[70:71], off
	s_or_b64 exec, exec, s[12:13]
	s_and_saveexec_b64 s[12:13], s[8:9]
	s_cbranch_execz .LBB1_66
.LBB1_73:                               ;   in Loop: Header=BB1_24 Depth=1
	v_mov_b32_e32 v37, s23
	v_add_co_u32_e32 v36, vcc, s22, v18
	v_addc_co_u32_e32 v37, vcc, v17, v37, vcc
	global_store_dwordx2 v[36:37], v[64:65], off
	s_or_b64 exec, exec, s[12:13]
	s_and_saveexec_b64 s[12:13], s[10:11]
	s_cbranch_execz .LBB1_67
.LBB1_74:                               ;   in Loop: Header=BB1_24 Depth=1
	v_mov_b32_e32 v37, s23
	v_add_co_u32_e32 v36, vcc, s22, v10
	v_addc_co_u32_e32 v37, vcc, v9, v37, vcc
	global_store_dwordx2 v[36:37], v[60:61], off
	s_or_b64 exec, exec, s[12:13]
	s_and_saveexec_b64 s[12:13], s[4:5]
	s_cbranch_execz .LBB1_68
.LBB1_75:                               ;   in Loop: Header=BB1_24 Depth=1
	v_mov_b32_e32 v37, s23
	v_add_co_u32_e32 v36, vcc, s22, v32
	v_addc_co_u32_e32 v37, vcc, v31, v37, vcc
	global_store_dwordx2 v[36:37], v[50:51], off
	s_or_b64 exec, exec, s[12:13]
	s_and_saveexec_b64 s[4:5], s[6:7]
	s_cbranch_execz .LBB1_69
.LBB1_76:                               ;   in Loop: Header=BB1_24 Depth=1
	v_mov_b32_e32 v37, s23
	v_add_co_u32_e32 v36, vcc, s22, v34
	v_addc_co_u32_e32 v37, vcc, v33, v37, vcc
	global_store_dwordx2 v[36:37], v[56:57], off
	s_or_b64 exec, exec, s[4:5]
	s_and_saveexec_b64 s[4:5], s[8:9]
	s_cbranch_execz .LBB1_70
.LBB1_77:                               ;   in Loop: Header=BB1_24 Depth=1
	v_mov_b32_e32 v37, s23
	v_add_co_u32_e32 v36, vcc, s22, v20
	v_addc_co_u32_e32 v37, vcc, v19, v37, vcc
	global_store_dwordx2 v[36:37], v[52:53], off
	s_or_b64 exec, exec, s[4:5]
	s_and_saveexec_b64 s[4:5], s[10:11]
	s_cbranch_execz .LBB1_23
.LBB1_78:                               ;   in Loop: Header=BB1_24 Depth=1
	v_mov_b32_e32 v37, s23
	v_add_co_u32_e32 v36, vcc, s22, v12
	v_addc_co_u32_e32 v37, vcc, v11, v37, vcc
	global_store_dwordx2 v[36:37], v[48:49], off
	s_branch .LBB1_23
.LBB1_79:                               ;   in Loop: Header=BB1_24 Depth=1
	v_mov_b32_e32 v47, s23
	v_add_co_u32_e32 v46, vcc, s22, v24
	v_addc_co_u32_e32 v47, vcc, v23, v47, vcc
	global_store_dwordx2 v[46:47], v[36:37], off
	s_or_b64 exec, exec, s[12:13]
	s_and_saveexec_b64 s[12:13], s[6:7]
	s_cbranch_execz .LBB1_59
.LBB1_80:                               ;   in Loop: Header=BB1_24 Depth=1
	v_mov_b32_e32 v37, s23
	v_add_co_u32_e32 v36, vcc, s22, v26
	v_addc_co_u32_e32 v37, vcc, v25, v37, vcc
	global_store_dwordx2 v[36:37], v[38:39], off
	s_or_b64 exec, exec, s[12:13]
	s_and_saveexec_b64 s[12:13], s[8:9]
	s_cbranch_execz .LBB1_60
.LBB1_81:                               ;   in Loop: Header=BB1_24 Depth=1
	v_mov_b32_e32 v37, s23
	v_add_co_u32_e32 v36, vcc, s22, v16
	v_addc_co_u32_e32 v37, vcc, v15, v37, vcc
	global_store_dwordx2 v[36:37], v[42:43], off
	s_or_b64 exec, exec, s[12:13]
	s_and_saveexec_b64 s[12:13], s[10:11]
	s_cbranch_execnz .LBB1_61
	s_branch .LBB1_62
.LBB1_82:
	s_endpgm
	.section	.rodata,"a",@progbits
	.p2align	6, 0x0
	.amdhsa_kernel _ZN2at6native12_GLOBAL__N_125multi_tensor_apply_kernelINS1_32FusedOptimizerTensorListMetadataILi4EEENS1_20FusedAdamMathFunctorIdLi4ELNS0_9ADAM_MODEE0ELb0EEEJPKfdddddbS9_S9_EEEvT_T0_DpT1_
		.amdhsa_group_segment_fixed_size 0
		.amdhsa_private_segment_fixed_size 0
		.amdhsa_kernarg_size 3672
		.amdhsa_user_sgpr_count 6
		.amdhsa_user_sgpr_private_segment_buffer 1
		.amdhsa_user_sgpr_dispatch_ptr 0
		.amdhsa_user_sgpr_queue_ptr 0
		.amdhsa_user_sgpr_kernarg_segment_ptr 1
		.amdhsa_user_sgpr_dispatch_id 0
		.amdhsa_user_sgpr_flat_scratch_init 0
		.amdhsa_user_sgpr_kernarg_preload_length 0
		.amdhsa_user_sgpr_kernarg_preload_offset 0
		.amdhsa_user_sgpr_private_segment_size 0
		.amdhsa_uses_dynamic_stack 0
		.amdhsa_system_sgpr_private_segment_wavefront_offset 0
		.amdhsa_system_sgpr_workgroup_id_x 1
		.amdhsa_system_sgpr_workgroup_id_y 0
		.amdhsa_system_sgpr_workgroup_id_z 0
		.amdhsa_system_sgpr_workgroup_info 0
		.amdhsa_system_vgpr_workitem_id 0
		.amdhsa_next_free_vgpr 90
		.amdhsa_next_free_sgpr 95
		.amdhsa_accum_offset 92
		.amdhsa_reserve_vcc 1
		.amdhsa_reserve_flat_scratch 0
		.amdhsa_float_round_mode_32 0
		.amdhsa_float_round_mode_16_64 0
		.amdhsa_float_denorm_mode_32 3
		.amdhsa_float_denorm_mode_16_64 3
		.amdhsa_dx10_clamp 1
		.amdhsa_ieee_mode 1
		.amdhsa_fp16_overflow 0
		.amdhsa_tg_split 0
		.amdhsa_exception_fp_ieee_invalid_op 0
		.amdhsa_exception_fp_denorm_src 0
		.amdhsa_exception_fp_ieee_div_zero 0
		.amdhsa_exception_fp_ieee_overflow 0
		.amdhsa_exception_fp_ieee_underflow 0
		.amdhsa_exception_fp_ieee_inexact 0
		.amdhsa_exception_int_div_zero 0
	.end_amdhsa_kernel
	.section	.text._ZN2at6native12_GLOBAL__N_125multi_tensor_apply_kernelINS1_32FusedOptimizerTensorListMetadataILi4EEENS1_20FusedAdamMathFunctorIdLi4ELNS0_9ADAM_MODEE0ELb0EEEJPKfdddddbS9_S9_EEEvT_T0_DpT1_,"axG",@progbits,_ZN2at6native12_GLOBAL__N_125multi_tensor_apply_kernelINS1_32FusedOptimizerTensorListMetadataILi4EEENS1_20FusedAdamMathFunctorIdLi4ELNS0_9ADAM_MODEE0ELb0EEEJPKfdddddbS9_S9_EEEvT_T0_DpT1_,comdat
.Lfunc_end1:
	.size	_ZN2at6native12_GLOBAL__N_125multi_tensor_apply_kernelINS1_32FusedOptimizerTensorListMetadataILi4EEENS1_20FusedAdamMathFunctorIdLi4ELNS0_9ADAM_MODEE0ELb0EEEJPKfdddddbS9_S9_EEEvT_T0_DpT1_, .Lfunc_end1-_ZN2at6native12_GLOBAL__N_125multi_tensor_apply_kernelINS1_32FusedOptimizerTensorListMetadataILi4EEENS1_20FusedAdamMathFunctorIdLi4ELNS0_9ADAM_MODEE0ELb0EEEJPKfdddddbS9_S9_EEEvT_T0_DpT1_
                                        ; -- End function
	.section	.AMDGPU.csdata,"",@progbits
; Kernel info:
; codeLenInByte = 10196
; NumSgprs: 99
; NumVgprs: 90
; NumAgprs: 0
; TotalNumVgprs: 90
; ScratchSize: 0
; MemoryBound: 0
; FloatMode: 240
; IeeeMode: 1
; LDSByteSize: 0 bytes/workgroup (compile time only)
; SGPRBlocks: 12
; VGPRBlocks: 11
; NumSGPRsForWavesPerEU: 99
; NumVGPRsForWavesPerEU: 90
; AccumOffset: 92
; Occupancy: 5
; WaveLimiterHint : 0
; COMPUTE_PGM_RSRC2:SCRATCH_EN: 0
; COMPUTE_PGM_RSRC2:USER_SGPR: 6
; COMPUTE_PGM_RSRC2:TRAP_HANDLER: 0
; COMPUTE_PGM_RSRC2:TGID_X_EN: 1
; COMPUTE_PGM_RSRC2:TGID_Y_EN: 0
; COMPUTE_PGM_RSRC2:TGID_Z_EN: 0
; COMPUTE_PGM_RSRC2:TIDIG_COMP_CNT: 0
; COMPUTE_PGM_RSRC3_GFX90A:ACCUM_OFFSET: 22
; COMPUTE_PGM_RSRC3_GFX90A:TG_SPLIT: 0
	.section	.text._ZN2at6native12_GLOBAL__N_125multi_tensor_apply_kernelINS1_32FusedOptimizerTensorListMetadataILi4EEENS1_20FusedAdamMathFunctorIfLi4ELNS0_9ADAM_MODEE0ELb0EEEJPKfdddddbS9_S9_EEEvT_T0_DpT1_,"axG",@progbits,_ZN2at6native12_GLOBAL__N_125multi_tensor_apply_kernelINS1_32FusedOptimizerTensorListMetadataILi4EEENS1_20FusedAdamMathFunctorIfLi4ELNS0_9ADAM_MODEE0ELb0EEEJPKfdddddbS9_S9_EEEvT_T0_DpT1_,comdat
	.globl	_ZN2at6native12_GLOBAL__N_125multi_tensor_apply_kernelINS1_32FusedOptimizerTensorListMetadataILi4EEENS1_20FusedAdamMathFunctorIfLi4ELNS0_9ADAM_MODEE0ELb0EEEJPKfdddddbS9_S9_EEEvT_T0_DpT1_ ; -- Begin function _ZN2at6native12_GLOBAL__N_125multi_tensor_apply_kernelINS1_32FusedOptimizerTensorListMetadataILi4EEENS1_20FusedAdamMathFunctorIfLi4ELNS0_9ADAM_MODEE0ELb0EEEJPKfdddddbS9_S9_EEEvT_T0_DpT1_
	.p2align	8
	.type	_ZN2at6native12_GLOBAL__N_125multi_tensor_apply_kernelINS1_32FusedOptimizerTensorListMetadataILi4EEENS1_20FusedAdamMathFunctorIfLi4ELNS0_9ADAM_MODEE0ELb0EEEJPKfdddddbS9_S9_EEEvT_T0_DpT1_,@function
_ZN2at6native12_GLOBAL__N_125multi_tensor_apply_kernelINS1_32FusedOptimizerTensorListMetadataILi4EEENS1_20FusedAdamMathFunctorIfLi4ELNS0_9ADAM_MODEE0ELb0EEEJPKfdddddbS9_S9_EEEvT_T0_DpT1_: ; @_ZN2at6native12_GLOBAL__N_125multi_tensor_apply_kernelINS1_32FusedOptimizerTensorListMetadataILi4EEENS1_20FusedAdamMathFunctorIfLi4ELNS0_9ADAM_MODEE0ELb0EEEJPKfdddddbS9_S9_EEEvT_T0_DpT1_
; %bb.0:
	v_mov_b32_e32 v1, s6
	global_load_ubyte v1, v1, s[4:5] offset:1728
	s_load_dwordx4 s[0:3], s[4:5], 0xd30
	s_load_dwordx8 s[8:15], s[4:5], 0xd10
	s_add_u32 s7, s4, s6
	s_mul_hi_u32 s16, s6, 3
	s_mul_i32 s6, s6, 3
	s_addc_u32 s17, s5, 0
	s_add_u32 s20, s7, s6
	s_addc_u32 s21, s17, s16
	s_waitcnt lgkmcnt(0)
	s_cmp_eq_u64 s[8:9], 0
	s_mov_b64 s[6:7], 0
	s_waitcnt vmcnt(0)
	v_readfirstlane_b32 s22, v1
	s_cbranch_scc1 .LBB2_20
; %bb.1:
	s_load_dword s8, s[8:9], 0x0
	s_andn2_b64 vcc, exec, s[6:7]
	s_waitcnt lgkmcnt(0)
	v_mov_b32_e32 v1, s8
	s_cbranch_vccnz .LBB2_3
.LBB2_2:
	v_cvt_f32_f64_e32 v1, s[10:11]
.LBB2_3:
	s_load_dwordx4 s[16:19], s[4:5], 0xd48
	s_waitcnt lgkmcnt(0)
	s_cmp_eq_u64 s[18:19], 0
	s_cselect_b64 s[6:7], -1, 0
	s_and_b64 vcc, exec, s[6:7]
	s_cbranch_vccnz .LBB2_5
; %bb.4:
	s_load_dword s6, s[18:19], 0x0
	s_waitcnt lgkmcnt(0)
	v_cmp_neq_f32_e64 s[6:7], s6, 1.0
.LBB2_5:
	s_andn2_b64 vcc, exec, s[6:7]
	s_cbranch_vccnz .LBB2_84
; %bb.6:
	s_load_dword s6, s[4:5], 0xd40
	v_cvt_f32_f64_e32 v36, s[12:13]
	v_cmp_eq_f32_e32 vcc, 1.0, v36
	v_cvt_f32_f64_e32 v38, s[0:1]
	v_cvt_f32_f64_e32 v37, s[14:15]
	s_waitcnt lgkmcnt(0)
	s_bitcmp1_b32 s6, 0
	s_cselect_b64 s[18:19], -1, 0
	s_and_b32 s6, s22, 0xff
	s_lshl_b32 s10, s6, 3
	s_load_dwordx2 s[6:7], s[4:5], s10 offset:0x5a0
	s_load_dword s8, s[20:21], 0x800
	s_mov_b32 s14, 0x3f2aaaab
	v_cvt_f32_f64_e32 v39, s[2:3]
	s_load_dwordx2 s[22:23], s[4:5], s10 offset:0x480
	s_waitcnt lgkmcnt(0)
	s_load_dword s9, s[6:7], 0x0
	v_mov_b32_e32 v22, 0x3ecccdef
	s_mov_b32 s20, 0x3f317218
	s_movk_i32 s12, 0x204
	s_mov_b32 s13, 0x42b17218
	s_waitcnt lgkmcnt(0)
	v_mov_b32_e32 v18, s9
	v_cndmask_b32_e64 v19, v18, 1.0, vcc
	v_cmp_eq_f32_e64 s[0:1], 0, v19
	v_cndmask_b32_e64 v20, |v36|, 1.0, s[0:1]
	v_frexp_mant_f32_e32 v2, v20
	v_cmp_gt_f32_e64 s[2:3], s14, v2
	v_cndmask_b32_e64 v3, 1.0, 2.0, s[2:3]
	v_mul_f32_e32 v2, v2, v3
	v_add_f32_e32 v5, 1.0, v2
	v_rcp_f32_e32 v10, v5
	v_add_f32_e32 v3, -1.0, v2
	v_add_f32_e32 v4, -1.0, v5
	v_sub_f32_e32 v2, v2, v4
	v_mul_f32_e32 v11, v3, v10
	v_mul_f32_e32 v4, v5, v11
	v_fma_f32 v6, v11, v5, -v4
	v_fmac_f32_e32 v6, v11, v2
	v_add_f32_e32 v2, v4, v6
	v_sub_f32_e32 v5, v3, v2
	v_pk_add_f32 v[8:9], v[2:3], v[4:5] neg_lo:[0,1] neg_hi:[0,1]
	v_mov_b32_e32 v7, v2
	v_pk_add_f32 v[2:3], v[8:9], v[6:7] neg_lo:[0,1] neg_hi:[0,1]
	v_add_f32_e32 v2, v2, v3
	v_add_f32_e32 v2, v5, v2
	v_mul_f32_e32 v3, v10, v2
	v_add_f32_e32 v2, v11, v3
	v_sub_f32_e32 v4, v2, v11
	v_sub_f32_e32 v12, v3, v4
	v_mul_f32_e32 v3, v2, v2
	v_fma_f32 v5, v2, v2, -v3
	v_add_f32_e32 v4, v12, v12
	v_fmac_f32_e32 v5, v2, v4
	v_add_f32_e32 v4, v3, v5
	v_mov_b32_e32 v6, 0x3e91f4c4
	v_fmac_f32_e32 v6, 0x3e76c4e1, v4
	v_fma_f32 v6, v4, v6, v22
	v_sub_f32_e32 v3, v4, v3
	v_sub_f32_e32 v13, v5, v3
	v_mul_f32_e32 v3, v4, v6
	v_fma_f32 v5, v4, v6, -v3
	v_fmac_f32_e32 v5, v13, v6
	v_add_f32_e32 v6, v3, v5
	v_add_f32_e32 v7, 0x3f2aaaaa, v6
	v_sub_f32_e32 v3, v6, v3
	v_sub_f32_e32 v3, v5, v3
	v_add_f32_e32 v5, 0xbf2aaaaa, v7
	v_add_f32_e32 v3, 0x31739010, v3
	v_sub_f32_e32 v5, v6, v5
	v_pk_mul_f32 v[8:9], v[2:3], v[4:5]
	v_fma_f32 v6, v4, v2, -v8
	v_pk_add_f32 v[10:11], v[2:3], v[4:5]
	v_fmac_f32_e32 v6, v4, v12
	v_mov_b32_e32 v9, v11
	v_fmac_f32_e32 v6, v13, v2
	v_pk_add_f32 v[4:5], v[8:9], v[6:7]
	v_sub_f32_e32 v3, v4, v8
	v_sub_f32_e32 v3, v6, v3
	;; [unrolled: 1-line block ×3, first 2 shown]
	v_add_f32_e32 v9, v11, v6
	v_mov_b32_e32 v6, v5
	v_pk_mul_f32 v[6:7], v[4:5], v[6:7]
	v_cvt_f64_f32_e32 v[10:11], v20
	v_frexp_exp_i32_f64_e32 v7, v[10:11]
	v_subbrev_co_u32_e64 v7, s[2:3], 0, v7, s[2:3]
	v_cvt_f32_i32_e32 v7, v7
	v_fma_f32 v8, v4, v5, -v6
	v_fmac_f32_e32 v8, v4, v9
	v_fmac_f32_e32 v8, v3, v5
	v_mul_f32_e32 v4, 0x3f317218, v7
	v_fma_f32 v10, v7, s20, -v4
	v_fmac_f32_e32 v10, 0xb102e308, v7
	v_ldexp_f32 v11, v2, 1
	v_add_f32_e32 v5, v6, v8
	v_pk_add_f32 v[2:3], v[4:5], v[10:11]
	v_ldexp_f32 v14, v12, 1
	v_mov_b32_e32 v12, v5
	v_mov_b32_e32 v13, v3
	;; [unrolled: 1-line block ×3, first 2 shown]
	v_pk_add_f32 v[6:7], v[12:13], v[6:7] neg_lo:[0,1] neg_hi:[0,1]
	v_mov_b32_e32 v9, v5
	v_pk_add_f32 v[6:7], v[8:9], v[6:7] neg_lo:[0,1] neg_hi:[0,1]
	v_add_f32_e32 v5, v14, v6
	v_add_f32_e32 v5, v5, v7
	v_pk_add_f32 v[6:7], v[2:3], v[4:5] neg_lo:[0,1] neg_hi:[0,1]
	v_pk_add_f32 v[8:9], v[2:3], v[4:5]
	v_mov_b32_e32 v12, v6
	v_mov_b32_e32 v13, v9
	;; [unrolled: 1-line block ×3, first 2 shown]
	v_pk_add_f32 v[12:13], v[10:11], v[12:13]
	v_mov_b32_e32 v4, v13
	v_pk_add_f32 v[14:15], v[4:5], v[2:3] neg_lo:[0,1] neg_hi:[0,1]
	v_mov_b32_e32 v15, v14
	v_mov_b32_e32 v12, v9
	;; [unrolled: 1-line block ×4, first 2 shown]
	v_pk_add_f32 v[6:7], v[10:11], v[6:7] neg_lo:[0,1] neg_hi:[0,1]
	v_pk_add_f32 v[16:17], v[8:9], v[14:15] neg_lo:[0,1] neg_hi:[0,1]
	;; [unrolled: 1-line block ×3, first 2 shown]
	v_mov_b32_e32 v10, v5
	v_pk_add_f32 v[2:3], v[10:11], v[2:3] neg_lo:[0,1] neg_hi:[0,1]
	v_mov_b32_e32 v16, v6
	v_pk_add_f32 v[8:9], v[16:17], v[2:3]
	v_mov_b32_e32 v10, v9
	v_pk_add_f32 v[10:11], v[8:9], v[10:11]
	v_pk_add_f32 v[4:5], v[4:5], v[10:11]
	v_mov_b32_e32 v7, v13
	v_mov_b32_e32 v9, v4
	v_pk_add_f32 v[12:13], v[8:9], v[6:7] neg_lo:[0,1] neg_hi:[0,1]
	v_mov_b32_e32 v3, v10
	v_sub_f32_e32 v5, v8, v12
	v_pk_add_f32 v[2:3], v[2:3], v[12:13] neg_lo:[0,1] neg_hi:[0,1]
	v_sub_f32_e32 v5, v6, v5
	v_add_f32_e32 v2, v2, v5
	v_add_f32_e32 v2, v2, v3
	;; [unrolled: 1-line block ×3, first 2 shown]
	v_sub_f32_e32 v4, v3, v4
	v_sub_f32_e32 v2, v2, v4
	v_mul_f32_e32 v4, v19, v3
	v_fma_f32 v3, v19, v3, -v4
	v_fmac_f32_e32 v3, v19, v2
	v_add_f32_e32 v2, v4, v3
	v_cmp_class_f32_e64 s[2:3], v4, s12
	v_sub_f32_e32 v5, v2, v4
	v_cndmask_b32_e64 v2, v2, v4, s[2:3]
	v_mov_b32_e32 v23, 0x37000000
	v_cmp_eq_f32_e64 s[2:3], s13, v2
	v_cndmask_b32_e64 v4, 0, v23, s[2:3]
	v_sub_f32_e32 v3, v3, v5
	v_sub_f32_e32 v5, v2, v4
	s_mov_b32 s21, 0x3fb8aa3b
	v_mul_f32_e32 v6, 0x3fb8aa3b, v5
	v_fma_f32 v7, v5, s21, -v6
	v_rndne_f32_e32 v8, v6
	v_fmac_f32_e32 v7, 0x32a5705f, v5
	v_sub_f32_e32 v6, v6, v8
	v_add_f32_e32 v6, v6, v7
	v_exp_f32_e32 v6, v6
	v_cvt_i32_f32_e32 v7, v8
	s_mov_b32 s9, 0x7f800000
	v_cmp_neq_f32_e64 s[2:3], |v2|, s9
	s_mov_b32 s24, 0xc2ce8ed0
	v_cndmask_b32_e64 v2, 0, v3, s[2:3]
	v_ldexp_f32 v3, v6, v7
	v_cmp_ngt_f32_e64 s[2:3], s24, v5
	v_cndmask_b32_e64 v3, 0, v3, s[2:3]
	v_mov_b32_e32 v24, 0x7f800000
	v_cmp_nlt_f32_e64 s[2:3], s13, v5
	v_add_f32_e32 v2, v4, v2
	v_cndmask_b32_e64 v3, v24, v3, s[2:3]
	v_fma_f32 v2, v3, v2, v3
	v_cmp_class_f32_e64 s[2:3], v3, s12
	v_cndmask_b32_e64 v2, v2, v3, s[2:3]
	v_trunc_f32_e32 v3, v19
	v_cndmask_b32_e64 v25, v36, 1.0, s[0:1]
	v_cmp_eq_f32_e64 s[0:1], v3, v19
	v_mul_f32_e32 v3, 0.5, v19
	v_trunc_f32_e32 v4, v3
	v_cmp_neq_f32_e64 s[2:3], v4, v3
	s_and_b64 s[2:3], s[0:1], s[2:3]
	v_cndmask_b32_e64 v3, 1.0, v25, s[2:3]
	s_brev_b32 s15, -2
	v_mov_b32_e32 v26, 0x7fc00000
	v_bfi_b32 v2, s15, v2, v3
	v_cndmask_b32_e64 v3, v26, v2, s[0:1]
	v_cmp_gt_f32_e64 s[0:1], 0, v25
	v_cndmask_b32_e64 v2, v2, v3, s[0:1]
	v_cndmask_b32_e64 v3, |v18|, 1.0, vcc
	v_cmp_neq_f32_e32 vcc, v19, v3
	v_cmp_gt_f32_e64 s[0:1], 1.0, v20
	s_xor_b64 s[0:1], vcc, s[0:1]
	v_cndmask_b32_e64 v4, v3, 0, s[0:1]
	v_cmp_eq_f32_e32 vcc, 1.0, v20
	v_cmp_eq_f32_e64 s[0:1], 0, v25
	v_cmp_gt_f32_e64 s[6:7], 0, v19
	v_cndmask_b32_e32 v4, v4, v20, vcc
	v_cmp_eq_f32_e32 vcc, s9, v3
	s_xor_b64 s[6:7], s[6:7], s[0:1]
	v_cndmask_b32_e32 v2, v2, v4, vcc
	v_cmp_eq_f32_e32 vcc, s9, v20
	v_cndmask_b32_e64 v3, v24, 0, s[6:7]
	v_cndmask_b32_e64 v4, 0, v25, s[2:3]
	v_bfi_b32 v3, s15, v3, v4
	s_or_b64 vcc, vcc, s[0:1]
	v_cndmask_b32_e32 v20, v2, v3, vcc
	v_cmp_eq_f32_e32 vcc, 1.0, v37
	v_cndmask_b32_e64 v27, v18, 1.0, vcc
	v_cmp_eq_f32_e64 s[0:1], 0, v27
	v_cndmask_b32_e64 v28, |v37|, 1.0, s[0:1]
	v_frexp_mant_f32_e32 v2, v28
	v_cmp_gt_f32_e64 s[2:3], s14, v2
	v_cndmask_b32_e64 v3, 1.0, 2.0, s[2:3]
	v_mul_f32_e32 v2, v2, v3
	v_add_f32_e32 v5, 1.0, v2
	v_rcp_f32_e32 v10, v5
	v_add_f32_e32 v3, -1.0, v5
	v_sub_f32_e32 v7, v2, v3
	v_add_f32_e32 v3, -1.0, v2
	v_mul_f32_e32 v11, v3, v10
	v_mul_f32_e32 v4, v5, v11
	v_fma_f32 v6, v11, v5, -v4
	v_fmac_f32_e32 v6, v11, v7
	v_add_f32_e32 v2, v4, v6
	v_sub_f32_e32 v5, v3, v2
	v_pk_add_f32 v[8:9], v[2:3], v[4:5] neg_lo:[0,1] neg_hi:[0,1]
	v_mov_b32_e32 v7, v2
	v_pk_add_f32 v[2:3], v[8:9], v[6:7] neg_lo:[0,1] neg_hi:[0,1]
	v_add_f32_e32 v2, v2, v3
	v_add_f32_e32 v2, v5, v2
	v_mul_f32_e32 v3, v10, v2
	v_add_f32_e32 v2, v11, v3
	v_sub_f32_e32 v4, v2, v11
	v_sub_f32_e32 v12, v3, v4
	v_mul_f32_e32 v3, v2, v2
	v_fma_f32 v5, v2, v2, -v3
	v_add_f32_e32 v4, v12, v12
	v_fmac_f32_e32 v5, v2, v4
	v_mov_b32_e32 v21, 0x3e91f4c4
	v_add_f32_e32 v4, v3, v5
	v_fmac_f32_e32 v21, 0x3e76c4e1, v4
	v_fmac_f32_e32 v22, v4, v21
	v_sub_f32_e32 v3, v4, v3
	v_sub_f32_e32 v13, v5, v3
	v_mul_f32_e32 v3, v4, v22
	v_fma_f32 v5, v4, v22, -v3
	v_fmac_f32_e32 v5, v13, v22
	v_add_f32_e32 v6, v3, v5
	v_add_f32_e32 v7, 0x3f2aaaaa, v6
	v_sub_f32_e32 v3, v6, v3
	v_sub_f32_e32 v3, v5, v3
	v_add_f32_e32 v5, 0xbf2aaaaa, v7
	v_add_f32_e32 v3, 0x31739010, v3
	v_sub_f32_e32 v5, v6, v5
	v_pk_mul_f32 v[8:9], v[2:3], v[4:5]
	v_fma_f32 v6, v4, v2, -v8
	v_pk_add_f32 v[10:11], v[2:3], v[4:5]
	v_fmac_f32_e32 v6, v4, v12
	v_mov_b32_e32 v9, v11
	v_fmac_f32_e32 v6, v13, v2
	v_pk_add_f32 v[4:5], v[8:9], v[6:7]
	v_sub_f32_e32 v3, v4, v8
	v_sub_f32_e32 v3, v6, v3
	;; [unrolled: 1-line block ×3, first 2 shown]
	v_add_f32_e32 v10, v11, v6
	v_mov_b32_e32 v6, v5
	v_pk_mul_f32 v[6:7], v[4:5], v[6:7]
	v_cvt_f64_f32_e32 v[8:9], v28
	v_frexp_exp_i32_f64_e32 v7, v[8:9]
	v_subbrev_co_u32_e64 v7, s[2:3], 0, v7, s[2:3]
	v_cvt_f32_i32_e32 v7, v7
	v_fma_f32 v8, v4, v5, -v6
	v_fmac_f32_e32 v8, v4, v10
	v_fmac_f32_e32 v8, v3, v5
	v_mul_f32_e32 v4, 0x3f317218, v7
	v_fma_f32 v10, v7, s20, -v4
	v_fmac_f32_e32 v10, 0xb102e308, v7
	v_ldexp_f32 v11, v2, 1
	v_add_f32_e32 v5, v6, v8
	v_pk_add_f32 v[2:3], v[4:5], v[10:11]
	v_ldexp_f32 v14, v12, 1
	v_mov_b32_e32 v12, v5
	v_mov_b32_e32 v13, v3
	v_mov_b32_e32 v7, v11
	v_pk_add_f32 v[6:7], v[12:13], v[6:7] neg_lo:[0,1] neg_hi:[0,1]
	v_mov_b32_e32 v9, v5
	v_pk_add_f32 v[6:7], v[8:9], v[6:7] neg_lo:[0,1] neg_hi:[0,1]
	v_add_f32_e32 v5, v14, v6
	v_add_f32_e32 v5, v5, v7
	v_pk_add_f32 v[6:7], v[2:3], v[4:5] neg_lo:[0,1] neg_hi:[0,1]
	v_pk_add_f32 v[8:9], v[2:3], v[4:5]
	v_mov_b32_e32 v12, v6
	v_mov_b32_e32 v13, v9
	;; [unrolled: 1-line block ×3, first 2 shown]
	v_pk_add_f32 v[12:13], v[10:11], v[12:13]
	v_mov_b32_e32 v4, v13
	v_pk_add_f32 v[14:15], v[4:5], v[2:3] neg_lo:[0,1] neg_hi:[0,1]
	v_mov_b32_e32 v15, v14
	v_mov_b32_e32 v12, v9
	;; [unrolled: 1-line block ×4, first 2 shown]
	v_pk_add_f32 v[6:7], v[10:11], v[6:7] neg_lo:[0,1] neg_hi:[0,1]
	v_pk_add_f32 v[16:17], v[8:9], v[14:15] neg_lo:[0,1] neg_hi:[0,1]
	;; [unrolled: 1-line block ×3, first 2 shown]
	v_mov_b32_e32 v10, v5
	v_pk_add_f32 v[2:3], v[10:11], v[2:3] neg_lo:[0,1] neg_hi:[0,1]
	v_mov_b32_e32 v16, v6
	v_pk_add_f32 v[8:9], v[16:17], v[2:3]
	v_mov_b32_e32 v10, v9
	v_pk_add_f32 v[10:11], v[8:9], v[10:11]
	v_pk_add_f32 v[4:5], v[4:5], v[10:11]
	v_mov_b32_e32 v7, v13
	v_mov_b32_e32 v9, v4
	v_pk_add_f32 v[12:13], v[8:9], v[6:7] neg_lo:[0,1] neg_hi:[0,1]
	v_mov_b32_e32 v3, v10
	v_sub_f32_e32 v5, v8, v12
	v_pk_add_f32 v[2:3], v[2:3], v[12:13] neg_lo:[0,1] neg_hi:[0,1]
	v_sub_f32_e32 v5, v6, v5
	v_add_f32_e32 v2, v2, v5
	v_add_f32_e32 v2, v2, v3
	;; [unrolled: 1-line block ×3, first 2 shown]
	v_sub_f32_e32 v4, v3, v4
	v_sub_f32_e32 v2, v2, v4
	v_mul_f32_e32 v4, v27, v3
	v_fma_f32 v3, v27, v3, -v4
	v_fmac_f32_e32 v3, v27, v2
	v_add_f32_e32 v2, v4, v3
	v_cmp_class_f32_e64 s[2:3], v4, s12
	v_sub_f32_e32 v5, v2, v4
	v_cndmask_b32_e64 v2, v2, v4, s[2:3]
	v_cmp_eq_f32_e64 s[2:3], s13, v2
	v_cndmask_b32_e64 v4, 0, v23, s[2:3]
	v_sub_f32_e32 v3, v3, v5
	v_sub_f32_e32 v5, v2, v4
	v_mul_f32_e32 v6, 0x3fb8aa3b, v5
	v_fma_f32 v7, v5, s21, -v6
	v_rndne_f32_e32 v8, v6
	v_fmac_f32_e32 v7, 0x32a5705f, v5
	v_sub_f32_e32 v6, v6, v8
	v_add_f32_e32 v6, v6, v7
	v_exp_f32_e32 v6, v6
	v_cvt_i32_f32_e32 v7, v8
	v_cmp_neq_f32_e64 s[2:3], |v2|, s9
	v_cndmask_b32_e64 v2, 0, v3, s[2:3]
	v_cmp_ngt_f32_e64 s[2:3], s24, v5
	v_ldexp_f32 v3, v6, v7
	v_cndmask_b32_e64 v3, 0, v3, s[2:3]
	v_cmp_nlt_f32_e64 s[2:3], s13, v5
	v_add_f32_e32 v2, v4, v2
	v_cndmask_b32_e64 v3, v24, v3, s[2:3]
	v_fma_f32 v2, v3, v2, v3
	v_cmp_class_f32_e64 s[2:3], v3, s12
	v_trunc_f32_e32 v4, v27
	v_cndmask_b32_e64 v2, v2, v3, s[2:3]
	v_cndmask_b32_e64 v3, v37, 1.0, s[0:1]
	v_cmp_eq_f32_e64 s[0:1], v4, v27
	v_mul_f32_e32 v4, 0.5, v27
	v_trunc_f32_e32 v5, v4
	v_cmp_neq_f32_e64 s[2:3], v5, v4
	s_and_b64 s[2:3], s[0:1], s[2:3]
	v_cndmask_b32_e64 v4, 1.0, v3, s[2:3]
	v_bfi_b32 v2, s15, v2, v4
	v_cndmask_b32_e64 v4, v26, v2, s[0:1]
	v_cmp_gt_f32_e64 s[0:1], 0, v3
	v_cndmask_b32_e64 v2, v2, v4, s[0:1]
	v_cndmask_b32_e64 v4, |v18|, 1.0, vcc
	v_cmp_neq_f32_e32 vcc, v27, v4
	v_cmp_gt_f32_e64 s[0:1], 1.0, v28
	s_xor_b64 s[0:1], vcc, s[0:1]
	v_cndmask_b32_e64 v5, v4, 0, s[0:1]
	v_cmp_eq_f32_e32 vcc, 1.0, v28
	v_cmp_eq_f32_e64 s[0:1], 0, v3
	v_cmp_gt_f32_e64 s[6:7], 0, v27
	v_cndmask_b32_e32 v5, v5, v28, vcc
	v_cmp_eq_f32_e32 vcc, s9, v4
	s_xor_b64 s[6:7], s[6:7], s[0:1]
	v_cndmask_b32_e32 v2, v2, v5, vcc
	v_cmp_eq_f32_e32 vcc, s9, v28
	v_cndmask_b32_e64 v4, v24, 0, s[6:7]
	v_cndmask_b32_e64 v5, 0, v3, s[2:3]
	v_bfi_b32 v4, s15, v4, v5
	s_or_b64 vcc, vcc, s[0:1]
	v_cndmask_b32_e32 v2, v2, v4, vcc
	v_sub_f32_e32 v2, 1.0, v2
	v_cmp_o_f32_e32 vcc, v3, v27
	v_cndmask_b32_e32 v2, v26, v2, vcc
	s_mov_b32 s0, 0xf800000
	v_mul_f32_e32 v3, 0x4f800000, v2
	v_cmp_gt_f32_e32 vcc, s0, v2
	v_cndmask_b32_e32 v2, v2, v3, vcc
	v_sqrt_f32_e32 v3, v2
	v_sub_f32_e32 v4, 1.0, v20
	v_cmp_o_f32_e64 s[0:1], v25, v19
	v_cndmask_b32_e64 v25, v26, v4, s[0:1]
	v_add_u32_e32 v4, -1, v3
	v_fma_f32 v5, -v4, v3, v2
	v_cmp_ge_f32_e64 s[0:1], 0, v5
	v_add_u32_e32 v5, 1, v3
	v_cndmask_b32_e64 v4, v3, v4, s[0:1]
	v_fma_f32 v3, -v5, v3, v2
	s_load_dwordx2 s[30:31], s[4:5], s10 offset:0x0
	v_cmp_lt_f32_e64 s[0:1], 0, v3
	s_ashr_i32 s9, s8, 31
	v_cndmask_b32_e64 v3, v4, v5, s[0:1]
	s_lshl_b64 s[0:1], s[8:9], 16
	s_sub_u32 s14, s22, s0
	s_subb_u32 s15, s23, s1
	s_lshl_b64 s[20:21], s[8:9], 18
	s_load_dwordx2 s[12:13], s[4:5], s10 offset:0x120
	s_load_dwordx2 s[28:29], s[4:5], s10 offset:0x240
	;; [unrolled: 1-line block ×3, first 2 shown]
	s_waitcnt lgkmcnt(0)
	s_add_u32 s33, s30, s20
	s_addc_u32 s36, s31, s21
	s_and_b32 s6, s33, 15
	s_add_u32 s37, s12, s20
	s_mov_b32 s11, 0
	s_addc_u32 s38, s13, s21
	s_and_b32 s10, s37, 15
	s_cmp_lg_u64 s[10:11], 0
	s_cselect_b64 s[0:1], -1, 0
	s_add_u32 s39, s28, s20
	s_addc_u32 s40, s29, s21
	s_add_u32 s41, s34, s20
	s_addc_u32 s42, s35, s21
	s_or_b32 s2, s41, s39
	s_and_b32 s2, s2, 15
	s_cmp_lg_u32 s2, 0
	s_cselect_b64 s[2:3], -1, 0
	s_or_b64 s[0:1], s[2:3], s[0:1]
	s_and_b32 s2, s22, 3
	s_or_b32 s10, s6, s2
	v_mul_f32_e32 v4, 0x37800000, v3
	s_cmp_lg_u64 s[10:11], 0
	v_cndmask_b32_e32 v3, v3, v4, vcc
	v_mov_b32_e32 v4, 0x260
	s_cselect_b64 s[2:3], -1, 0
	v_cmp_class_f32_e32 vcc, v2, v4
	s_or_b64 s[0:1], s[0:1], s[2:3]
	v_cndmask_b32_e32 v40, v3, v2, vcc
	s_andn2_b64 vcc, exec, s[0:1]
	s_mov_b64 s[0:1], -1
	s_cbranch_vccz .LBB2_22
; %bb.7:
	v_mov_b32_e32 v23, 0
	v_lshlrev_b32_e32 v22, 2, v0
	v_cmp_gt_i64_e32 vcc, s[14:15], v[22:23]
	s_and_saveexec_b64 s[22:23], vcc
	s_cbranch_execz .LBB2_21
; %bb.8:
	v_div_scale_f32 v2, s[0:1], v25, v25, v1
	v_rcp_f32_e32 v3, v2
	s_load_dword s6, s[4:5], 0xd64
	s_cmp_lg_u64 s[16:17], 0
	s_cselect_b64 s[2:3], -1, 0
	v_fma_f32 v4, -v2, v3, 1.0
	v_fmac_f32_e32 v3, v4, v3
	v_div_scale_f32 v4, vcc, v1, v25, v1
	v_mul_f32_e32 v5, v4, v3
	v_fma_f32 v6, -v2, v5, v4
	v_fmac_f32_e32 v5, v6, v3
	v_fma_f32 v2, -v2, v5, v4
	v_div_fmas_f32 v2, v2, v3, v5
	s_waitcnt lgkmcnt(0)
	s_and_b32 s6, s6, 0xffff
	v_div_fixup_f32 v41, v2, v25, v1
	v_add_lshl_u32 v22, v0, s6, 2
	v_cndmask_b32_e64 v2, 0, 1, s[2:3]
	s_mov_b64 s[24:25], 0
	v_cmp_neq_f32_e64 s[0:1], 0, v38
	s_lshl_b32 s10, s6, 2
	v_lshlrev_b32_e32 v24, 4, v0
	s_lshl_b32 s43, s6, 4
	v_cmp_ne_u32_e64 s[2:3], 1, v2
	s_mov_b32 s44, 0xf800000
	v_mov_b32_e32 v42, 0x260
	s_mov_b64 s[26:27], 0xffff
	v_pk_mov_b32 v[26:27], v[22:23], v[22:23] op_sel:[0,1]
	s_branch .LBB2_10
.LBB2_9:                                ;   in Loop: Header=BB2_10 Depth=1
	v_cmp_le_i64_e32 vcc, s[14:15], v[26:27]
	v_cmp_lt_u64_e64 s[6:7], s[26:27], v[26:27]
	s_or_b64 s[6:7], vcc, s[6:7]
	s_add_u32 s33, s33, s43
	s_addc_u32 s36, s36, 0
	s_add_u32 s41, s41, s43
	s_addc_u32 s42, s42, 0
	;; [unrolled: 2-line block ×4, first 2 shown]
	v_mov_b32_e32 v2, s11
	s_and_b64 s[6:7], exec, s[6:7]
	v_add_co_u32_e32 v26, vcc, s10, v26
	s_or_b64 s[24:25], s[6:7], s[24:25]
	v_addc_co_u32_e32 v27, vcc, v27, v2, vcc
	global_store_dwordx4 v[32:33], v[14:17], off
	global_store_dwordx4 v[34:35], v[18:21], off
	s_andn2_b64 exec, exec, s[24:25]
	s_cbranch_execz .LBB2_21
.LBB2_10:                               ; =>This Inner Loop Header: Depth=1
	v_mov_b32_e32 v2, s36
	v_add_co_u32_e32 v30, vcc, s33, v24
	v_addc_co_u32_e32 v31, vcc, 0, v2, vcc
	v_mov_b32_e32 v2, s38
	v_add_co_u32_e32 v28, vcc, s37, v24
	v_addc_co_u32_e32 v29, vcc, 0, v2, vcc
	;; [unrolled: 3-line block ×4, first 2 shown]
	global_load_dwordx4 v[6:9], v[30:31], off
	global_load_dwordx4 v[2:5], v[28:29], off
	;; [unrolled: 1-line block ×4, first 2 shown]
	s_and_b64 vcc, exec, s[2:3]
	s_cbranch_vccnz .LBB2_12
; %bb.11:                               ;   in Loop: Header=BB2_10 Depth=1
	global_load_dword v18, v23, s[16:17]
	s_waitcnt vmcnt(0)
	v_div_scale_f32 v19, s[6:7], v18, v18, v2
	v_rcp_f32_e32 v20, v19
	v_div_scale_f32 v21, vcc, v2, v18, v2
	v_fma_f32 v22, -v19, v20, 1.0
	v_fmac_f32_e32 v20, v22, v20
	v_mul_f32_e32 v22, v21, v20
	v_fma_f32 v43, -v19, v22, v21
	v_fmac_f32_e32 v22, v43, v20
	v_fma_f32 v19, -v19, v22, v21
	v_div_fmas_f32 v19, v19, v20, v22
	v_div_fixup_f32 v2, v19, v18, v2
.LBB2_12:                               ;   in Loop: Header=BB2_10 Depth=1
	s_and_b64 vcc, exec, s[2:3]
	s_cbranch_vccnz .LBB2_14
; %bb.13:                               ;   in Loop: Header=BB2_10 Depth=1
	global_load_dword v18, v23, s[16:17]
	s_waitcnt vmcnt(0)
	v_div_scale_f32 v19, s[6:7], v18, v18, v3
	v_rcp_f32_e32 v20, v19
	v_div_scale_f32 v21, vcc, v3, v18, v3
	v_fma_f32 v22, -v19, v20, 1.0
	v_fmac_f32_e32 v20, v22, v20
	v_mul_f32_e32 v22, v21, v20
	v_fma_f32 v43, -v19, v22, v21
	v_fmac_f32_e32 v22, v43, v20
	v_fma_f32 v19, -v19, v22, v21
	v_div_fmas_f32 v19, v19, v20, v22
	v_div_fixup_f32 v3, v19, v18, v3
.LBB2_14:                               ;   in Loop: Header=BB2_10 Depth=1
	;; [unrolled: 17-line block ×4, first 2 shown]
	s_waitcnt vmcnt(2)
	v_cndmask_b32_e64 v18, v4, -v4, s[18:19]
	v_fma_f32 v19, v8, v38, v18
	v_cndmask_b32_e64 v18, v18, v19, s[0:1]
	v_mul_f32_e32 v19, v18, v18
	v_fma_f32 v20, -v37, v19, v19
	s_waitcnt vmcnt(0)
	v_fmac_f32_e32 v20, v37, v16
	v_mul_f32_e32 v16, 0x4f800000, v20
	v_cmp_gt_f32_e32 vcc, s44, v20
	v_cndmask_b32_e32 v16, v20, v16, vcc
	v_sqrt_f32_e32 v19, v16
	v_add_u32_e32 v21, -1, v19
	v_fma_f32 v43, -v21, v19, v16
	v_add_u32_e32 v22, 1, v19
	v_cmp_ge_f32_e64 s[6:7], 0, v43
	v_cndmask_b32_e64 v21, v19, v21, s[6:7]
	v_fma_f32 v19, -v22, v19, v16
	v_cmp_lt_f32_e64 s[6:7], 0, v19
	v_cndmask_b32_e64 v19, v21, v22, s[6:7]
	v_mul_f32_e32 v21, 0x37800000, v19
	v_cndmask_b32_e32 v19, v19, v21, vcc
	v_cmp_class_f32_e32 vcc, v16, v42
	v_cndmask_b32_e32 v19, v19, v16, vcc
	v_div_scale_f32 v21, s[6:7], v40, v40, v19
	v_rcp_f32_e32 v22, v21
	v_fma_f32 v16, -v36, v18, v18
	v_fmac_f32_e32 v16, v36, v12
	v_fma_f32 v12, -v21, v22, 1.0
	v_fmac_f32_e32 v22, v12, v22
	v_div_scale_f32 v12, vcc, v19, v40, v19
	v_mul_f32_e32 v18, v12, v22
	v_fma_f32 v43, -v21, v18, v12
	v_fmac_f32_e32 v18, v43, v22
	v_fma_f32 v12, -v21, v18, v12
	v_div_fmas_f32 v12, v12, v22, v18
	v_div_fixup_f32 v12, v12, v40, v19
	v_add_f32_e32 v12, v12, v39
	v_mul_f32_e32 v21, v41, v16
	v_div_scale_f32 v18, s[6:7], v12, v12, v21
	v_rcp_f32_e32 v22, v18
	v_div_scale_f32 v43, vcc, v21, v12, v21
	v_fma_f32 v19, -v18, v22, 1.0
	v_fmac_f32_e32 v22, v19, v22
	v_cndmask_b32_e64 v19, v3, -v3, s[18:19]
	v_fma_f32 v45, v7, v38, v19
	v_cndmask_b32_e64 v45, v19, v45, s[0:1]
	v_mul_f32_e32 v19, v45, v45
	v_fma_f32 v19, -v37, v19, v19
	v_fmac_f32_e32 v19, v37, v15
	v_mul_f32_e32 v15, 0x4f800000, v19
	v_cmp_gt_f32_e64 s[6:7], s44, v19
	v_cndmask_b32_e64 v15, v19, v15, s[6:7]
	v_sqrt_f32_e32 v46, v15
	v_mul_f32_e32 v44, v43, v22
	v_fma_f32 v47, -v18, v44, v43
	v_fmac_f32_e32 v44, v47, v22
	v_fma_f32 v18, -v18, v44, v43
	v_add_u32_e32 v43, -1, v46
	v_fma_f32 v47, -v43, v46, v15
	v_cmp_ge_f32_e64 s[8:9], 0, v47
	v_add_u32_e32 v47, 1, v46
	v_cndmask_b32_e64 v43, v46, v43, s[8:9]
	v_fma_f32 v46, -v47, v46, v15
	v_cmp_lt_f32_e64 s[8:9], 0, v46
	v_cndmask_b32_e64 v43, v43, v47, s[8:9]
	v_mul_f32_e32 v46, 0x37800000, v43
	v_cndmask_b32_e64 v43, v43, v46, s[6:7]
	v_cmp_class_f32_e64 s[6:7], v15, v42
	v_cndmask_b32_e64 v43, v43, v15, s[6:7]
	v_div_scale_f32 v46, s[6:7], v40, v40, v43
	v_rcp_f32_e32 v47, v46
	v_fma_f32 v15, -v36, v45, v45
	v_fmac_f32_e32 v15, v36, v11
	v_div_fmas_f32 v22, v18, v22, v44
	v_fma_f32 v11, -v46, v47, 1.0
	v_fmac_f32_e32 v47, v11, v47
	v_div_scale_f32 v11, vcc, v43, v40, v43
	v_mul_f32_e32 v18, v11, v47
	v_fma_f32 v44, -v46, v18, v11
	v_fmac_f32_e32 v18, v44, v47
	v_fma_f32 v11, -v46, v18, v11
	v_div_fmas_f32 v11, v11, v47, v18
	v_div_fixup_f32 v11, v11, v40, v43
	v_add_f32_e32 v11, v11, v39
	v_mul_f32_e32 v43, v41, v15
	v_div_scale_f32 v44, s[6:7], v11, v11, v43
	v_rcp_f32_e32 v45, v44
	v_div_scale_f32 v46, vcc, v43, v11, v43
	v_div_fixup_f32 v12, v22, v12, v21
	v_fma_f32 v18, -v44, v45, 1.0
	v_fmac_f32_e32 v45, v18, v45
	v_cndmask_b32_e64 v18, v2, -v2, s[18:19]
	v_fma_f32 v48, v6, v38, v18
	v_cndmask_b32_e64 v48, v18, v48, s[0:1]
	v_mul_f32_e32 v18, v48, v48
	v_fma_f32 v18, -v37, v18, v18
	v_fmac_f32_e32 v18, v37, v14
	v_mul_f32_e32 v14, 0x4f800000, v18
	v_cmp_gt_f32_e64 s[6:7], s44, v18
	v_cndmask_b32_e64 v14, v18, v14, s[6:7]
	v_sqrt_f32_e32 v49, v14
	v_mul_f32_e32 v47, v46, v45
	v_fma_f32 v50, -v44, v47, v46
	v_fmac_f32_e32 v47, v50, v45
	v_fma_f32 v44, -v44, v47, v46
	v_add_u32_e32 v46, -1, v49
	v_fma_f32 v50, -v46, v49, v14
	v_cmp_ge_f32_e64 s[8:9], 0, v50
	v_add_u32_e32 v50, 1, v49
	v_cndmask_b32_e64 v46, v49, v46, s[8:9]
	v_fma_f32 v49, -v50, v49, v14
	v_cmp_lt_f32_e64 s[8:9], 0, v49
	v_cndmask_b32_e64 v46, v46, v50, s[8:9]
	v_mul_f32_e32 v49, 0x37800000, v46
	v_cndmask_b32_e64 v46, v46, v49, s[6:7]
	v_cmp_class_f32_e64 s[6:7], v14, v42
	v_cndmask_b32_e64 v46, v46, v14, s[6:7]
	v_div_scale_f32 v49, s[6:7], v40, v40, v46
	v_rcp_f32_e32 v50, v49
	v_fma_f32 v14, -v36, v48, v48
	v_fmac_f32_e32 v14, v36, v10
	v_div_fmas_f32 v44, v44, v45, v47
	v_fma_f32 v10, -v49, v50, 1.0
	v_fmac_f32_e32 v50, v10, v50
	v_div_scale_f32 v10, vcc, v46, v40, v46
	v_mul_f32_e32 v45, v10, v50
	v_fma_f32 v47, -v49, v45, v10
	v_fmac_f32_e32 v45, v47, v50
	v_fma_f32 v10, -v49, v45, v10
	v_div_fmas_f32 v10, v10, v50, v45
	v_div_fixup_f32 v10, v10, v40, v46
	v_cndmask_b32_e64 v21, v5, -v5, s[18:19]
	v_add_f32_e32 v10, v10, v39
	v_mul_f32_e32 v45, v41, v14
	v_div_fixup_f32 v11, v44, v11, v43
	v_fma_f32 v43, v9, v38, v21
	v_div_scale_f32 v46, s[6:7], v10, v10, v45
	v_cndmask_b32_e64 v43, v21, v43, s[0:1]
	v_rcp_f32_e32 v47, v46
	v_mul_f32_e32 v21, v43, v43
	v_fma_f32 v21, -v37, v21, v21
	v_fmac_f32_e32 v21, v37, v17
	v_mul_f32_e32 v17, 0x4f800000, v21
	v_cmp_gt_f32_e64 s[6:7], s44, v21
	v_sub_f32_e32 v8, v8, v12
	v_fma_f32 v12, -v46, v47, 1.0
	v_cndmask_b32_e64 v17, v21, v17, s[6:7]
	v_fmac_f32_e32 v47, v12, v47
	v_div_scale_f32 v12, vcc, v45, v10, v45
	v_sqrt_f32_e32 v44, v17
	v_mul_f32_e32 v22, v12, v47
	v_fma_f32 v48, -v46, v22, v12
	v_fmac_f32_e32 v22, v48, v47
	v_fma_f32 v12, -v46, v22, v12
	v_add_u32_e32 v46, -1, v44
	v_fma_f32 v48, -v46, v44, v17
	v_cmp_ge_f32_e64 s[8:9], 0, v48
	v_add_u32_e32 v48, 1, v44
	v_cndmask_b32_e64 v46, v44, v46, s[8:9]
	v_fma_f32 v44, -v48, v44, v17
	v_cmp_lt_f32_e64 s[8:9], 0, v44
	v_cndmask_b32_e64 v44, v46, v48, s[8:9]
	v_mul_f32_e32 v46, 0x37800000, v44
	v_cndmask_b32_e64 v44, v44, v46, s[6:7]
	v_cmp_class_f32_e64 s[6:7], v17, v42
	v_cndmask_b32_e64 v44, v44, v17, s[6:7]
	v_div_scale_f32 v46, s[6:7], v40, v40, v44
	v_rcp_f32_e32 v48, v46
	v_fma_f32 v17, -v36, v43, v43
	v_fmac_f32_e32 v17, v36, v13
	v_div_fmas_f32 v12, v12, v47, v22
	v_fma_f32 v13, -v46, v48, 1.0
	v_fmac_f32_e32 v48, v13, v48
	v_div_scale_f32 v13, vcc, v44, v40, v44
	v_mul_f32_e32 v22, v13, v48
	v_fma_f32 v43, -v46, v22, v13
	v_fmac_f32_e32 v22, v43, v48
	v_fma_f32 v13, -v46, v22, v13
	v_div_fmas_f32 v13, v13, v48, v22
	v_div_fixup_f32 v13, v13, v40, v44
	v_add_f32_e32 v13, v13, v39
	v_mul_f32_e32 v22, v41, v17
	v_div_scale_f32 v43, s[6:7], v13, v13, v22
	v_rcp_f32_e32 v44, v43
	v_div_fixup_f32 v10, v12, v10, v45
	v_sub_f32_e32 v6, v6, v10
	v_sub_f32_e32 v7, v7, v11
	v_fma_f32 v10, -v43, v44, 1.0
	v_fmac_f32_e32 v44, v10, v44
	v_div_scale_f32 v10, vcc, v22, v13, v22
	v_mul_f32_e32 v11, v10, v44
	v_fma_f32 v12, -v43, v11, v10
	v_fmac_f32_e32 v11, v12, v44
	v_fma_f32 v10, -v43, v11, v10
	v_div_fmas_f32 v10, v10, v44, v11
	v_div_fixup_f32 v10, v10, v13, v22
	v_sub_f32_e32 v9, v9, v10
	s_and_b64 vcc, exec, s[2:3]
	global_store_dwordx4 v[30:31], v[6:9], off
	s_cbranch_vccnz .LBB2_9
; %bb.19:                               ;   in Loop: Header=BB2_10 Depth=1
	global_store_dwordx4 v[28:29], v[2:5], off
	s_branch .LBB2_9
.LBB2_20:
                                        ; implicit-def: $sgpr8
	v_mov_b32_e32 v1, s8
	s_branch .LBB2_2
.LBB2_21:
	s_or_b64 exec, exec, s[22:23]
	s_mov_b64 s[0:1], 0
.LBB2_22:
	s_andn2_b64 vcc, exec, s[0:1]
	s_cbranch_vccnz .LBB2_84
; %bb.23:
	v_cmp_lt_i64_e64 s[0:1], s[14:15], 1
	s_and_b64 vcc, exec, s[0:1]
	s_cbranch_vccnz .LBB2_84
; %bb.24:
	s_load_dword s0, s[4:5], 0xd64
	v_mov_b32_e32 v4, 0x10000
	v_mov_b32_e32 v5, 0
	v_cmp_lt_u64_e32 vcc, s[14:15], v[4:5]
	v_mov_b32_e32 v23, s31
	s_waitcnt lgkmcnt(0)
	s_and_b32 s4, s0, 0xffff
	v_div_scale_f32 v2, s[0:1], v25, v25, v1
	v_rcp_f32_e32 v4, v2
	s_and_b64 s[0:1], vcc, exec
	v_mov_b32_e32 v3, 0
	v_mov_b32_e32 v29, s29
	v_fma_f32 v5, -v2, v4, 1.0
	v_fmac_f32_e32 v4, v5, v4
	v_div_scale_f32 v5, vcc, v1, v25, v1
	v_mul_f32_e32 v6, v5, v4
	v_fma_f32 v7, -v2, v6, v5
	v_fmac_f32_e32 v6, v7, v4
	v_fma_f32 v2, -v2, v6, v5
	v_div_fmas_f32 v2, v2, v4, v6
	v_div_fixup_f32 v34, v2, v25, v1
	v_lshlrev_b32_e32 v2, 2, v0
	v_add_co_u32_e32 v4, vcc, s30, v2
	v_addc_co_u32_e32 v1, vcc, 0, v23, vcc
	v_mov_b32_e32 v25, s13
	v_add_co_u32_e32 v6, vcc, s12, v2
	v_addc_co_u32_e32 v5, vcc, 0, v25, vcc
	v_mad_u64_u32 v[14:15], s[2:3], s4, 12, v[2:3]
	v_add_co_u32_e32 v8, vcc, s30, v14
	v_addc_co_u32_e32 v7, vcc, v23, v15, vcc
	v_add_co_u32_e32 v10, vcc, s12, v14
	v_addc_co_u32_e32 v9, vcc, v25, v15, vcc
	;; [unrolled: 2-line block ×3, first 2 shown]
	v_mov_b32_e32 v33, s35
	v_add_co_u32_e32 v14, vcc, s34, v14
	s_mul_i32 s6, s4, 3
	v_addc_co_u32_e32 v13, vcc, v33, v15, vcc
	s_cselect_b32 s23, s15, 0
	s_cselect_b32 s22, s14, 0x10000
	s_lshl_b32 s5, s4, 1
	v_add_co_u32_e32 v35, vcc, s6, v0
	s_cmp_lg_u64 s[16:17], 0
	v_addc_co_u32_e64 v41, s[2:3], 0, 0, vcc
	s_cselect_b64 s[26:27], -1, 0
	s_lshl_b32 s2, s4, 3
	v_add_co_u32_e32 v21, vcc, s2, v2
	v_addc_co_u32_e64 v24, s[2:3], 0, 0, vcc
	v_add_co_u32_e32 v16, vcc, s30, v21
	v_addc_co_u32_e32 v15, vcc, v23, v24, vcc
	v_add_co_u32_e32 v18, vcc, s12, v21
	v_addc_co_u32_e32 v17, vcc, v25, v24, vcc
	;; [unrolled: 2-line block ×4, first 2 shown]
	v_add_co_u32_e32 v42, vcc, s5, v0
	v_addc_co_u32_e64 v43, s[2:3], 0, 0, vcc
	v_add_co_u32_e32 v44, vcc, s4, v0
	v_lshlrev_b32_e32 v31, 2, v44
	v_addc_co_u32_e64 v45, s[2:3], 0, 0, vcc
	v_add_co_u32_e32 v24, vcc, s30, v31
	v_addc_co_u32_e32 v23, vcc, 0, v23, vcc
	v_add_co_u32_e32 v26, vcc, s12, v31
	v_addc_co_u32_e32 v25, vcc, 0, v25, vcc
	;; [unrolled: 2-line block ×4, first 2 shown]
	v_add_co_u32_e32 v32, vcc, s34, v31
	v_add_co_u32_e64 v2, s[2:3], s34, v2
	s_mov_b32 s33, 0
	s_mov_b64 s[24:25], 0
	v_cmp_neq_f32_e64 s[0:1], 0, v38
	s_lshl_b32 s36, s4, 2
	s_lshl_b32 s31, s4, 4
	s_mov_b32 s30, 0xf800000
	v_addc_co_u32_e64 v31, s[2:3], 0, v33, s[2:3]
	v_addc_co_u32_e32 v33, vcc, 0, v33, vcc
	v_mov_b32_e32 v46, 0x260
	s_branch .LBB2_26
.LBB2_25:                               ;   in Loop: Header=BB2_26 Depth=1
	s_or_b64 exec, exec, s[2:3]
	s_add_u32 s24, s24, s36
	s_addc_u32 s25, s25, 0
	v_pk_mov_b32 v[48:49], s[14:15], s[14:15] op_sel:[0,1]
	v_cmp_ge_i64_e32 vcc, s[24:25], v[48:49]
	v_mov_b32_e32 v48, 0xffff
	v_mov_b32_e32 v49, 0
	v_cmp_gt_u64_e64 s[2:3], s[24:25], v[48:49]
	s_or_b64 s[2:3], vcc, s[2:3]
	v_mov_b32_e32 v47, s33
	v_add_co_u32_e32 v4, vcc, s31, v4
	v_addc_co_u32_e32 v1, vcc, v1, v47, vcc
	v_add_co_u32_e32 v6, vcc, s31, v6
	v_addc_co_u32_e32 v5, vcc, v5, v47, vcc
	;; [unrolled: 2-line block ×16, first 2 shown]
	s_and_b64 vcc, exec, s[2:3]
	s_cbranch_vccnz .LBB2_84
.LBB2_26:                               ; =>This Inner Loop Header: Depth=1
	v_mov_b32_e32 v47, s25
	v_add_co_u32_e32 v48, vcc, s24, v0
	v_addc_co_u32_e32 v49, vcc, 0, v47, vcc
	v_cmp_gt_u64_e64 s[2:3], s[22:23], v[48:49]
	v_mov_b32_e32 v55, 0
	v_mov_b32_e32 v47, 0
	s_and_saveexec_b64 s[4:5], s[2:3]
	s_cbranch_execz .LBB2_28
; %bb.27:                               ;   in Loop: Header=BB2_26 Depth=1
	v_mov_b32_e32 v47, s21
	v_add_co_u32_e32 v48, vcc, s20, v6
	v_addc_co_u32_e32 v49, vcc, v5, v47, vcc
	v_add_co_u32_e32 v50, vcc, s20, v4
	v_addc_co_u32_e32 v51, vcc, v1, v47, vcc
	global_load_dword v55, v[50:51], off
	global_load_dword v47, v[48:49], off
.LBB2_28:                               ;   in Loop: Header=BB2_26 Depth=1
	s_or_b64 exec, exec, s[4:5]
	v_mov_b32_e32 v53, 0
	v_mov_b32_e32 v54, 0
	v_mov_b32_e32 v63, 0
	s_and_saveexec_b64 s[4:5], s[2:3]
	s_cbranch_execz .LBB2_30
; %bb.29:                               ;   in Loop: Header=BB2_26 Depth=1
	v_mov_b32_e32 v51, s21
	v_add_co_u32_e32 v48, vcc, s20, v2
	v_addc_co_u32_e32 v49, vcc, v31, v51, vcc
	v_add_co_u32_e32 v50, vcc, s20, v28
	v_addc_co_u32_e32 v51, vcc, v27, v51, vcc
	global_load_dword v54, v[50:51], off
	global_load_dword v63, v[48:49], off
.LBB2_30:                               ;   in Loop: Header=BB2_26 Depth=1
	s_or_b64 exec, exec, s[4:5]
	v_mov_b32_e32 v49, s25
	v_add_co_u32_e32 v48, vcc, s24, v44
	v_addc_co_u32_e32 v49, vcc, v45, v49, vcc
	v_cmp_gt_u64_e64 s[4:5], s[22:23], v[48:49]
	v_mov_b32_e32 v48, 0
	s_and_saveexec_b64 s[6:7], s[4:5]
	s_cbranch_execz .LBB2_32
; %bb.31:                               ;   in Loop: Header=BB2_26 Depth=1
	v_mov_b32_e32 v48, s21
	v_add_co_u32_e32 v50, vcc, s20, v26
	v_addc_co_u32_e32 v51, vcc, v25, v48, vcc
	v_add_co_u32_e32 v56, vcc, s20, v24
	v_addc_co_u32_e32 v57, vcc, v23, v48, vcc
	global_load_dword v53, v[56:57], off
	global_load_dword v48, v[50:51], off
.LBB2_32:                               ;   in Loop: Header=BB2_26 Depth=1
	s_or_b64 exec, exec, s[6:7]
	v_mov_b32_e32 v52, 0
	v_mov_b32_e32 v62, 0
	v_mov_b32_e32 v61, 0
	s_and_saveexec_b64 s[6:7], s[4:5]
	s_cbranch_execz .LBB2_34
; %bb.33:                               ;   in Loop: Header=BB2_26 Depth=1
	v_mov_b32_e32 v49, s21
	v_add_co_u32_e32 v50, vcc, s20, v32
	v_addc_co_u32_e32 v51, vcc, v33, v49, vcc
	v_add_co_u32_e32 v56, vcc, s20, v30
	v_addc_co_u32_e32 v57, vcc, v29, v49, vcc
	global_load_dword v62, v[56:57], off
	global_load_dword v61, v[50:51], off
.LBB2_34:                               ;   in Loop: Header=BB2_26 Depth=1
	s_or_b64 exec, exec, s[6:7]
	v_mov_b32_e32 v49, s25
	v_add_co_u32_e32 v50, vcc, s24, v42
	v_addc_co_u32_e32 v51, vcc, v43, v49, vcc
	v_cmp_gt_u64_e64 s[6:7], s[22:23], v[50:51]
	;; [unrolled: 32-line block ×3, first 2 shown]
	v_mov_b32_e32 v50, 0
	s_and_saveexec_b64 s[10:11], s[8:9]
	s_cbranch_execz .LBB2_40
; %bb.39:                               ;   in Loop: Header=BB2_26 Depth=1
	v_mov_b32_e32 v50, s21
	v_add_co_u32_e32 v56, vcc, s20, v10
	v_addc_co_u32_e32 v57, vcc, v9, v50, vcc
	v_add_co_u32_e32 v64, vcc, s20, v8
	v_addc_co_u32_e32 v65, vcc, v7, v50, vcc
	global_load_dword v51, v[64:65], off
	global_load_dword v50, v[56:57], off
.LBB2_40:                               ;   in Loop: Header=BB2_26 Depth=1
	s_or_b64 exec, exec, s[10:11]
	v_mov_b32_e32 v58, 0
	v_mov_b32_e32 v57, 0
	s_and_saveexec_b64 s[10:11], s[8:9]
	s_cbranch_execz .LBB2_42
; %bb.41:                               ;   in Loop: Header=BB2_26 Depth=1
	v_mov_b32_e32 v56, s21
	v_add_co_u32_e32 v64, vcc, s20, v14
	v_addc_co_u32_e32 v65, vcc, v13, v56, vcc
	v_add_co_u32_e32 v66, vcc, s20, v12
	v_addc_co_u32_e32 v67, vcc, v11, v56, vcc
	global_load_dword v58, v[66:67], off
	global_load_dword v57, v[64:65], off
.LBB2_42:                               ;   in Loop: Header=BB2_26 Depth=1
	s_or_b64 exec, exec, s[10:11]
	v_cndmask_b32_e64 v56, 0, 1, s[26:27]
	v_cmp_ne_u32_e64 s[10:11], 1, v56
	s_andn2_b64 vcc, exec, s[26:27]
	s_cbranch_vccnz .LBB2_44
; %bb.43:                               ;   in Loop: Header=BB2_26 Depth=1
	global_load_dword v56, v3, s[16:17]
	s_waitcnt vmcnt(0)
	v_div_scale_f32 v64, s[12:13], v56, v56, v47
	v_rcp_f32_e32 v65, v64
	v_div_scale_f32 v66, vcc, v47, v56, v47
	v_fma_f32 v67, -v64, v65, 1.0
	v_fmac_f32_e32 v65, v67, v65
	v_mul_f32_e32 v67, v66, v65
	v_fma_f32 v68, -v64, v67, v66
	v_fmac_f32_e32 v67, v68, v65
	v_fma_f32 v64, -v64, v67, v66
	v_div_fmas_f32 v64, v64, v65, v67
	v_div_fixup_f32 v47, v64, v56, v47
.LBB2_44:                               ;   in Loop: Header=BB2_26 Depth=1
	s_and_b64 vcc, exec, s[10:11]
	s_cbranch_vccnz .LBB2_46
; %bb.45:                               ;   in Loop: Header=BB2_26 Depth=1
	global_load_dword v56, v3, s[16:17]
	s_waitcnt vmcnt(0)
	v_div_scale_f32 v64, s[12:13], v56, v56, v48
	v_rcp_f32_e32 v65, v64
	v_div_scale_f32 v66, vcc, v48, v56, v48
	v_fma_f32 v67, -v64, v65, 1.0
	v_fmac_f32_e32 v65, v67, v65
	v_mul_f32_e32 v67, v66, v65
	v_fma_f32 v68, -v64, v67, v66
	v_fmac_f32_e32 v67, v68, v65
	v_fma_f32 v64, -v64, v67, v66
	v_div_fmas_f32 v64, v64, v65, v67
	v_div_fixup_f32 v48, v64, v56, v48
.LBB2_46:                               ;   in Loop: Header=BB2_26 Depth=1
	s_and_b64 vcc, exec, s[10:11]
	;; [unrolled: 17-line block ×3, first 2 shown]
	s_cbranch_vccnz .LBB2_50
; %bb.49:                               ;   in Loop: Header=BB2_26 Depth=1
	global_load_dword v56, v3, s[16:17]
	s_waitcnt vmcnt(0)
	v_div_scale_f32 v64, s[12:13], v56, v56, v50
	v_rcp_f32_e32 v65, v64
	v_div_scale_f32 v66, vcc, v50, v56, v50
	v_fma_f32 v67, -v64, v65, 1.0
	v_fmac_f32_e32 v65, v67, v65
	v_mul_f32_e32 v67, v66, v65
	v_fma_f32 v68, -v64, v67, v66
	v_fmac_f32_e32 v67, v68, v65
	v_fma_f32 v64, -v64, v67, v66
	v_div_fmas_f32 v64, v64, v65, v67
	v_div_fixup_f32 v50, v64, v56, v50
.LBB2_50:                               ;   in Loop: Header=BB2_26 Depth=1
	s_waitcnt vmcnt(0)
	v_cndmask_b32_e64 v56, v47, -v47, s[18:19]
	v_fma_f32 v64, v55, v38, v56
	v_cndmask_b32_e64 v64, v56, v64, s[0:1]
	v_fma_f32 v56, -v36, v64, v64
	v_fmac_f32_e32 v56, v36, v54
	v_mul_f32_e32 v54, v64, v64
	v_fma_f32 v54, -v37, v54, v54
	v_fmac_f32_e32 v54, v37, v63
	s_and_saveexec_b64 s[28:29], s[2:3]
	s_cbranch_execz .LBB2_52
; %bb.51:                               ;   in Loop: Header=BB2_26 Depth=1
	v_mul_f32_e32 v63, 0x4f800000, v54
	v_cmp_gt_f32_e32 vcc, s30, v54
	v_cndmask_b32_e32 v63, v54, v63, vcc
	v_sqrt_f32_e32 v64, v63
	v_add_u32_e32 v65, -1, v64
	v_fma_f32 v67, -v65, v64, v63
	v_add_u32_e32 v66, 1, v64
	v_cmp_ge_f32_e64 s[12:13], 0, v67
	v_cndmask_b32_e64 v65, v64, v65, s[12:13]
	v_fma_f32 v64, -v66, v64, v63
	v_cmp_lt_f32_e64 s[12:13], 0, v64
	v_cndmask_b32_e64 v64, v65, v66, s[12:13]
	v_mul_f32_e32 v65, 0x37800000, v64
	v_cndmask_b32_e32 v64, v64, v65, vcc
	v_cmp_class_f32_e32 vcc, v63, v46
	v_cndmask_b32_e32 v63, v64, v63, vcc
	v_div_scale_f32 v64, s[12:13], v40, v40, v63
	v_rcp_f32_e32 v65, v64
	v_fma_f32 v66, -v64, v65, 1.0
	v_fmac_f32_e32 v65, v66, v65
	v_div_scale_f32 v66, vcc, v63, v40, v63
	v_mul_f32_e32 v67, v66, v65
	v_fma_f32 v68, -v64, v67, v66
	v_fmac_f32_e32 v67, v68, v65
	v_fma_f32 v64, -v64, v67, v66
	v_div_fmas_f32 v64, v64, v65, v67
	v_div_fixup_f32 v63, v64, v40, v63
	v_add_f32_e32 v63, v63, v39
	v_mul_f32_e32 v64, v34, v56
	v_div_scale_f32 v65, s[12:13], v63, v63, v64
	v_rcp_f32_e32 v66, v65
	v_fma_f32 v67, -v65, v66, 1.0
	v_fmac_f32_e32 v66, v67, v66
	v_div_scale_f32 v67, vcc, v64, v63, v64
	v_mul_f32_e32 v68, v67, v66
	v_fma_f32 v69, -v65, v68, v67
	v_fmac_f32_e32 v68, v69, v66
	v_fma_f32 v65, -v65, v68, v67
	v_div_fmas_f32 v65, v65, v66, v68
	v_div_fixup_f32 v63, v65, v63, v64
	v_sub_f32_e32 v55, v55, v63
	v_mov_b32_e32 v63, s21
	v_add_co_u32_e32 v64, vcc, s20, v4
	v_addc_co_u32_e32 v65, vcc, v1, v63, vcc
	global_store_dword v[64:65], v55, off
.LBB2_52:                               ;   in Loop: Header=BB2_26 Depth=1
	s_or_b64 exec, exec, s[28:29]
	v_cndmask_b32_e64 v55, v48, -v48, s[18:19]
	v_fma_f32 v63, v53, v38, v55
	v_cndmask_b32_e64 v55, v55, v63, s[0:1]
	v_fma_f32 v63, -v36, v55, v55
	v_mul_f32_e32 v55, v55, v55
	v_fma_f32 v55, -v37, v55, v55
	v_fmac_f32_e32 v63, v36, v62
	v_fmac_f32_e32 v55, v37, v61
	s_and_saveexec_b64 s[28:29], s[4:5]
	s_cbranch_execz .LBB2_54
; %bb.53:                               ;   in Loop: Header=BB2_26 Depth=1
	v_mul_f32_e32 v61, 0x4f800000, v55
	v_cmp_gt_f32_e32 vcc, s30, v55
	v_cndmask_b32_e32 v61, v55, v61, vcc
	v_sqrt_f32_e32 v62, v61
	v_add_u32_e32 v64, -1, v62
	v_fma_f32 v66, -v64, v62, v61
	v_add_u32_e32 v65, 1, v62
	v_cmp_ge_f32_e64 s[12:13], 0, v66
	v_cndmask_b32_e64 v64, v62, v64, s[12:13]
	v_fma_f32 v62, -v65, v62, v61
	v_cmp_lt_f32_e64 s[12:13], 0, v62
	v_cndmask_b32_e64 v62, v64, v65, s[12:13]
	v_mul_f32_e32 v64, 0x37800000, v62
	v_cndmask_b32_e32 v62, v62, v64, vcc
	v_cmp_class_f32_e32 vcc, v61, v46
	v_cndmask_b32_e32 v61, v62, v61, vcc
	v_div_scale_f32 v62, s[12:13], v40, v40, v61
	v_rcp_f32_e32 v64, v62
	v_fma_f32 v65, -v62, v64, 1.0
	v_fmac_f32_e32 v64, v65, v64
	v_div_scale_f32 v65, vcc, v61, v40, v61
	v_mul_f32_e32 v66, v65, v64
	v_fma_f32 v67, -v62, v66, v65
	v_fmac_f32_e32 v66, v67, v64
	v_fma_f32 v62, -v62, v66, v65
	v_div_fmas_f32 v62, v62, v64, v66
	v_div_fixup_f32 v61, v62, v40, v61
	v_add_f32_e32 v61, v61, v39
	v_mul_f32_e32 v62, v34, v63
	v_div_scale_f32 v64, s[12:13], v61, v61, v62
	v_rcp_f32_e32 v65, v64
	v_fma_f32 v66, -v64, v65, 1.0
	v_fmac_f32_e32 v65, v66, v65
	v_div_scale_f32 v66, vcc, v62, v61, v62
	v_mul_f32_e32 v67, v66, v65
	v_fma_f32 v68, -v64, v67, v66
	v_fmac_f32_e32 v67, v68, v65
	v_fma_f32 v64, -v64, v67, v66
	v_div_fmas_f32 v64, v64, v65, v67
	v_div_fixup_f32 v61, v64, v61, v62
	v_sub_f32_e32 v53, v53, v61
	v_mov_b32_e32 v61, s21
	v_add_co_u32_e32 v64, vcc, s20, v24
	v_addc_co_u32_e32 v65, vcc, v23, v61, vcc
	global_store_dword v[64:65], v53, off
.LBB2_54:                               ;   in Loop: Header=BB2_26 Depth=1
	s_or_b64 exec, exec, s[28:29]
	v_cndmask_b32_e64 v53, v49, -v49, s[18:19]
	v_fma_f32 v61, v52, v38, v53
	v_cndmask_b32_e64 v53, v53, v61, s[0:1]
	v_fma_f32 v61, -v36, v53, v53
	v_mul_f32_e32 v53, v53, v53
	v_fma_f32 v53, -v37, v53, v53
	v_fmac_f32_e32 v61, v36, v60
	v_fmac_f32_e32 v53, v37, v59
	s_and_saveexec_b64 s[28:29], s[6:7]
	s_cbranch_execz .LBB2_56
; %bb.55:                               ;   in Loop: Header=BB2_26 Depth=1
	v_mul_f32_e32 v59, 0x4f800000, v53
	v_cmp_gt_f32_e32 vcc, s30, v53
	v_cndmask_b32_e32 v59, v53, v59, vcc
	v_sqrt_f32_e32 v60, v59
	v_add_u32_e32 v62, -1, v60
	v_fma_f32 v65, -v62, v60, v59
	v_add_u32_e32 v64, 1, v60
	v_cmp_ge_f32_e64 s[12:13], 0, v65
	v_cndmask_b32_e64 v62, v60, v62, s[12:13]
	v_fma_f32 v60, -v64, v60, v59
	v_cmp_lt_f32_e64 s[12:13], 0, v60
	v_cndmask_b32_e64 v60, v62, v64, s[12:13]
	v_mul_f32_e32 v62, 0x37800000, v60
	v_cndmask_b32_e32 v60, v60, v62, vcc
	v_cmp_class_f32_e32 vcc, v59, v46
	v_cndmask_b32_e32 v59, v60, v59, vcc
	v_div_scale_f32 v60, s[12:13], v40, v40, v59
	v_rcp_f32_e32 v62, v60
	v_fma_f32 v64, -v60, v62, 1.0
	v_fmac_f32_e32 v62, v64, v62
	v_div_scale_f32 v64, vcc, v59, v40, v59
	v_mul_f32_e32 v65, v64, v62
	v_fma_f32 v66, -v60, v65, v64
	v_fmac_f32_e32 v65, v66, v62
	v_fma_f32 v60, -v60, v65, v64
	v_div_fmas_f32 v60, v60, v62, v65
	v_div_fixup_f32 v59, v60, v40, v59
	v_add_f32_e32 v59, v59, v39
	v_mul_f32_e32 v60, v34, v61
	v_div_scale_f32 v62, s[12:13], v59, v59, v60
	v_rcp_f32_e32 v64, v62
	v_fma_f32 v65, -v62, v64, 1.0
	v_fmac_f32_e32 v64, v65, v64
	v_div_scale_f32 v65, vcc, v60, v59, v60
	v_mul_f32_e32 v66, v65, v64
	v_fma_f32 v67, -v62, v66, v65
	v_fmac_f32_e32 v66, v67, v64
	v_fma_f32 v62, -v62, v66, v65
	v_div_fmas_f32 v62, v62, v64, v66
	v_div_fixup_f32 v59, v62, v59, v60
	v_sub_f32_e32 v52, v52, v59
	v_mov_b32_e32 v59, s21
	v_add_co_u32_e32 v64, vcc, s20, v16
	v_addc_co_u32_e32 v65, vcc, v15, v59, vcc
	global_store_dword v[64:65], v52, off
.LBB2_56:                               ;   in Loop: Header=BB2_26 Depth=1
	s_or_b64 exec, exec, s[28:29]
	v_cndmask_b32_e64 v52, v50, -v50, s[18:19]
	v_fma_f32 v59, v51, v38, v52
	v_cndmask_b32_e64 v52, v52, v59, s[0:1]
	v_fma_f32 v59, -v36, v52, v52
	v_mul_f32_e32 v52, v52, v52
	v_fma_f32 v52, -v37, v52, v52
	v_fmac_f32_e32 v59, v36, v58
	v_fmac_f32_e32 v52, v37, v57
	s_and_saveexec_b64 s[28:29], s[8:9]
	s_cbranch_execz .LBB2_58
; %bb.57:                               ;   in Loop: Header=BB2_26 Depth=1
	v_mul_f32_e32 v57, 0x4f800000, v52
	v_cmp_gt_f32_e32 vcc, s30, v52
	v_cndmask_b32_e32 v57, v52, v57, vcc
	v_sqrt_f32_e32 v58, v57
	v_add_u32_e32 v60, -1, v58
	v_fma_f32 v64, -v60, v58, v57
	v_add_u32_e32 v62, 1, v58
	v_cmp_ge_f32_e64 s[12:13], 0, v64
	v_cndmask_b32_e64 v60, v58, v60, s[12:13]
	v_fma_f32 v58, -v62, v58, v57
	v_cmp_lt_f32_e64 s[12:13], 0, v58
	v_cndmask_b32_e64 v58, v60, v62, s[12:13]
	v_mul_f32_e32 v60, 0x37800000, v58
	v_cndmask_b32_e32 v58, v58, v60, vcc
	v_cmp_class_f32_e32 vcc, v57, v46
	v_cndmask_b32_e32 v57, v58, v57, vcc
	v_div_scale_f32 v58, s[12:13], v40, v40, v57
	v_rcp_f32_e32 v60, v58
	v_fma_f32 v62, -v58, v60, 1.0
	v_fmac_f32_e32 v60, v62, v60
	v_div_scale_f32 v62, vcc, v57, v40, v57
	v_mul_f32_e32 v64, v62, v60
	v_fma_f32 v65, -v58, v64, v62
	v_fmac_f32_e32 v64, v65, v60
	v_fma_f32 v58, -v58, v64, v62
	v_div_fmas_f32 v58, v58, v60, v64
	v_div_fixup_f32 v57, v58, v40, v57
	v_add_f32_e32 v57, v57, v39
	v_mul_f32_e32 v58, v34, v59
	v_div_scale_f32 v60, s[12:13], v57, v57, v58
	v_rcp_f32_e32 v62, v60
	v_fma_f32 v64, -v60, v62, 1.0
	v_fmac_f32_e32 v62, v64, v62
	v_div_scale_f32 v64, vcc, v58, v57, v58
	v_mul_f32_e32 v65, v64, v62
	v_fma_f32 v66, -v60, v65, v64
	v_fmac_f32_e32 v65, v66, v62
	v_fma_f32 v60, -v60, v65, v64
	v_div_fmas_f32 v60, v60, v62, v65
	v_div_fixup_f32 v57, v60, v57, v58
	v_sub_f32_e32 v51, v51, v57
	v_mov_b32_e32 v57, s21
	v_add_co_u32_e32 v64, vcc, s20, v8
	v_addc_co_u32_e32 v65, vcc, v7, v57, vcc
	global_store_dword v[64:65], v51, off
.LBB2_58:                               ;   in Loop: Header=BB2_26 Depth=1
	s_or_b64 exec, exec, s[28:29]
	s_and_b64 vcc, exec, s[10:11]
	s_cbranch_vccnz .LBB2_65
; %bb.59:                               ;   in Loop: Header=BB2_26 Depth=1
	s_and_saveexec_b64 s[10:11], s[2:3]
	s_cbranch_execnz .LBB2_81
; %bb.60:                               ;   in Loop: Header=BB2_26 Depth=1
	s_or_b64 exec, exec, s[10:11]
	s_and_saveexec_b64 s[10:11], s[4:5]
	s_cbranch_execnz .LBB2_82
.LBB2_61:                               ;   in Loop: Header=BB2_26 Depth=1
	s_or_b64 exec, exec, s[10:11]
	s_and_saveexec_b64 s[10:11], s[6:7]
	s_cbranch_execnz .LBB2_83
.LBB2_62:                               ;   in Loop: Header=BB2_26 Depth=1
	s_or_b64 exec, exec, s[10:11]
	s_and_saveexec_b64 s[10:11], s[8:9]
	s_cbranch_execz .LBB2_64
.LBB2_63:                               ;   in Loop: Header=BB2_26 Depth=1
	v_mov_b32_e32 v47, s21
	v_add_co_u32_e32 v48, vcc, s20, v10
	v_addc_co_u32_e32 v49, vcc, v9, v47, vcc
	global_store_dword v[48:49], v50, off
.LBB2_64:                               ;   in Loop: Header=BB2_26 Depth=1
	s_or_b64 exec, exec, s[10:11]
.LBB2_65:                               ;   in Loop: Header=BB2_26 Depth=1
	s_and_saveexec_b64 s[10:11], s[2:3]
	s_cbranch_execnz .LBB2_73
; %bb.66:                               ;   in Loop: Header=BB2_26 Depth=1
	s_or_b64 exec, exec, s[10:11]
	s_and_saveexec_b64 s[10:11], s[4:5]
	s_cbranch_execnz .LBB2_74
.LBB2_67:                               ;   in Loop: Header=BB2_26 Depth=1
	s_or_b64 exec, exec, s[10:11]
	s_and_saveexec_b64 s[10:11], s[6:7]
	s_cbranch_execnz .LBB2_75
.LBB2_68:                               ;   in Loop: Header=BB2_26 Depth=1
	s_or_b64 exec, exec, s[10:11]
	s_and_saveexec_b64 s[10:11], s[8:9]
	s_cbranch_execnz .LBB2_76
.LBB2_69:                               ;   in Loop: Header=BB2_26 Depth=1
	s_or_b64 exec, exec, s[10:11]
	s_and_saveexec_b64 s[10:11], s[2:3]
	s_cbranch_execnz .LBB2_77
.LBB2_70:                               ;   in Loop: Header=BB2_26 Depth=1
	s_or_b64 exec, exec, s[10:11]
	s_and_saveexec_b64 s[2:3], s[4:5]
	s_cbranch_execnz .LBB2_78
.LBB2_71:                               ;   in Loop: Header=BB2_26 Depth=1
	s_or_b64 exec, exec, s[2:3]
	s_and_saveexec_b64 s[2:3], s[6:7]
	s_cbranch_execnz .LBB2_79
.LBB2_72:                               ;   in Loop: Header=BB2_26 Depth=1
	s_or_b64 exec, exec, s[2:3]
	s_and_saveexec_b64 s[2:3], s[8:9]
	s_cbranch_execz .LBB2_25
	s_branch .LBB2_80
.LBB2_73:                               ;   in Loop: Header=BB2_26 Depth=1
	v_mov_b32_e32 v47, s21
	v_add_co_u32_e32 v48, vcc, s20, v28
	v_addc_co_u32_e32 v49, vcc, v27, v47, vcc
	global_store_dword v[48:49], v56, off
	s_or_b64 exec, exec, s[10:11]
	s_and_saveexec_b64 s[10:11], s[4:5]
	s_cbranch_execz .LBB2_67
.LBB2_74:                               ;   in Loop: Header=BB2_26 Depth=1
	v_mov_b32_e32 v47, s21
	v_add_co_u32_e32 v48, vcc, s20, v30
	v_addc_co_u32_e32 v49, vcc, v29, v47, vcc
	global_store_dword v[48:49], v63, off
	s_or_b64 exec, exec, s[10:11]
	s_and_saveexec_b64 s[10:11], s[6:7]
	s_cbranch_execz .LBB2_68
.LBB2_75:                               ;   in Loop: Header=BB2_26 Depth=1
	v_mov_b32_e32 v47, s21
	v_add_co_u32_e32 v48, vcc, s20, v20
	v_addc_co_u32_e32 v49, vcc, v19, v47, vcc
	global_store_dword v[48:49], v61, off
	s_or_b64 exec, exec, s[10:11]
	s_and_saveexec_b64 s[10:11], s[8:9]
	s_cbranch_execz .LBB2_69
.LBB2_76:                               ;   in Loop: Header=BB2_26 Depth=1
	v_mov_b32_e32 v47, s21
	v_add_co_u32_e32 v48, vcc, s20, v12
	v_addc_co_u32_e32 v49, vcc, v11, v47, vcc
	global_store_dword v[48:49], v59, off
	s_or_b64 exec, exec, s[10:11]
	s_and_saveexec_b64 s[10:11], s[2:3]
	s_cbranch_execz .LBB2_70
.LBB2_77:                               ;   in Loop: Header=BB2_26 Depth=1
	v_mov_b32_e32 v47, s21
	v_add_co_u32_e32 v48, vcc, s20, v2
	v_addc_co_u32_e32 v49, vcc, v31, v47, vcc
	global_store_dword v[48:49], v54, off
	s_or_b64 exec, exec, s[10:11]
	s_and_saveexec_b64 s[2:3], s[4:5]
	s_cbranch_execz .LBB2_71
.LBB2_78:                               ;   in Loop: Header=BB2_26 Depth=1
	v_mov_b32_e32 v47, s21
	v_add_co_u32_e32 v48, vcc, s20, v32
	v_addc_co_u32_e32 v49, vcc, v33, v47, vcc
	global_store_dword v[48:49], v55, off
	s_or_b64 exec, exec, s[2:3]
	s_and_saveexec_b64 s[2:3], s[6:7]
	s_cbranch_execz .LBB2_72
.LBB2_79:                               ;   in Loop: Header=BB2_26 Depth=1
	v_mov_b32_e32 v47, s21
	v_add_co_u32_e32 v48, vcc, s20, v22
	v_addc_co_u32_e32 v49, vcc, v21, v47, vcc
	global_store_dword v[48:49], v53, off
	s_or_b64 exec, exec, s[2:3]
	s_and_saveexec_b64 s[2:3], s[8:9]
	s_cbranch_execz .LBB2_25
.LBB2_80:                               ;   in Loop: Header=BB2_26 Depth=1
	v_mov_b32_e32 v47, s21
	v_add_co_u32_e32 v48, vcc, s20, v14
	v_addc_co_u32_e32 v49, vcc, v13, v47, vcc
	global_store_dword v[48:49], v52, off
	s_branch .LBB2_25
.LBB2_81:                               ;   in Loop: Header=BB2_26 Depth=1
	v_mov_b32_e32 v51, s21
	v_add_co_u32_e32 v64, vcc, s20, v6
	v_addc_co_u32_e32 v65, vcc, v5, v51, vcc
	global_store_dword v[64:65], v47, off
	s_or_b64 exec, exec, s[10:11]
	s_and_saveexec_b64 s[10:11], s[4:5]
	s_cbranch_execz .LBB2_61
.LBB2_82:                               ;   in Loop: Header=BB2_26 Depth=1
	v_mov_b32_e32 v47, s21
	v_add_co_u32_e32 v64, vcc, s20, v26
	v_addc_co_u32_e32 v65, vcc, v25, v47, vcc
	global_store_dword v[64:65], v48, off
	s_or_b64 exec, exec, s[10:11]
	s_and_saveexec_b64 s[10:11], s[6:7]
	s_cbranch_execz .LBB2_62
.LBB2_83:                               ;   in Loop: Header=BB2_26 Depth=1
	v_mov_b32_e32 v47, s21
	v_add_co_u32_e32 v64, vcc, s20, v18
	v_addc_co_u32_e32 v65, vcc, v17, v47, vcc
	global_store_dword v[64:65], v49, off
	s_or_b64 exec, exec, s[10:11]
	s_and_saveexec_b64 s[10:11], s[8:9]
	s_cbranch_execnz .LBB2_63
	s_branch .LBB2_64
.LBB2_84:
	s_endpgm
	.section	.rodata,"a",@progbits
	.p2align	6, 0x0
	.amdhsa_kernel _ZN2at6native12_GLOBAL__N_125multi_tensor_apply_kernelINS1_32FusedOptimizerTensorListMetadataILi4EEENS1_20FusedAdamMathFunctorIfLi4ELNS0_9ADAM_MODEE0ELb0EEEJPKfdddddbS9_S9_EEEvT_T0_DpT1_
		.amdhsa_group_segment_fixed_size 0
		.amdhsa_private_segment_fixed_size 0
		.amdhsa_kernarg_size 3672
		.amdhsa_user_sgpr_count 6
		.amdhsa_user_sgpr_private_segment_buffer 1
		.amdhsa_user_sgpr_dispatch_ptr 0
		.amdhsa_user_sgpr_queue_ptr 0
		.amdhsa_user_sgpr_kernarg_segment_ptr 1
		.amdhsa_user_sgpr_dispatch_id 0
		.amdhsa_user_sgpr_flat_scratch_init 0
		.amdhsa_user_sgpr_kernarg_preload_length 0
		.amdhsa_user_sgpr_kernarg_preload_offset 0
		.amdhsa_user_sgpr_private_segment_size 0
		.amdhsa_uses_dynamic_stack 0
		.amdhsa_system_sgpr_private_segment_wavefront_offset 0
		.amdhsa_system_sgpr_workgroup_id_x 1
		.amdhsa_system_sgpr_workgroup_id_y 0
		.amdhsa_system_sgpr_workgroup_id_z 0
		.amdhsa_system_sgpr_workgroup_info 0
		.amdhsa_system_vgpr_workitem_id 0
		.amdhsa_next_free_vgpr 70
		.amdhsa_next_free_sgpr 45
		.amdhsa_accum_offset 72
		.amdhsa_reserve_vcc 1
		.amdhsa_reserve_flat_scratch 0
		.amdhsa_float_round_mode_32 0
		.amdhsa_float_round_mode_16_64 0
		.amdhsa_float_denorm_mode_32 3
		.amdhsa_float_denorm_mode_16_64 3
		.amdhsa_dx10_clamp 1
		.amdhsa_ieee_mode 1
		.amdhsa_fp16_overflow 0
		.amdhsa_tg_split 0
		.amdhsa_exception_fp_ieee_invalid_op 0
		.amdhsa_exception_fp_denorm_src 0
		.amdhsa_exception_fp_ieee_div_zero 0
		.amdhsa_exception_fp_ieee_overflow 0
		.amdhsa_exception_fp_ieee_underflow 0
		.amdhsa_exception_fp_ieee_inexact 0
		.amdhsa_exception_int_div_zero 0
	.end_amdhsa_kernel
	.section	.text._ZN2at6native12_GLOBAL__N_125multi_tensor_apply_kernelINS1_32FusedOptimizerTensorListMetadataILi4EEENS1_20FusedAdamMathFunctorIfLi4ELNS0_9ADAM_MODEE0ELb0EEEJPKfdddddbS9_S9_EEEvT_T0_DpT1_,"axG",@progbits,_ZN2at6native12_GLOBAL__N_125multi_tensor_apply_kernelINS1_32FusedOptimizerTensorListMetadataILi4EEENS1_20FusedAdamMathFunctorIfLi4ELNS0_9ADAM_MODEE0ELb0EEEJPKfdddddbS9_S9_EEEvT_T0_DpT1_,comdat
.Lfunc_end2:
	.size	_ZN2at6native12_GLOBAL__N_125multi_tensor_apply_kernelINS1_32FusedOptimizerTensorListMetadataILi4EEENS1_20FusedAdamMathFunctorIfLi4ELNS0_9ADAM_MODEE0ELb0EEEJPKfdddddbS9_S9_EEEvT_T0_DpT1_, .Lfunc_end2-_ZN2at6native12_GLOBAL__N_125multi_tensor_apply_kernelINS1_32FusedOptimizerTensorListMetadataILi4EEENS1_20FusedAdamMathFunctorIfLi4ELNS0_9ADAM_MODEE0ELb0EEEJPKfdddddbS9_S9_EEEvT_T0_DpT1_
                                        ; -- End function
	.section	.AMDGPU.csdata,"",@progbits
; Kernel info:
; codeLenInByte = 8156
; NumSgprs: 49
; NumVgprs: 70
; NumAgprs: 0
; TotalNumVgprs: 70
; ScratchSize: 0
; MemoryBound: 0
; FloatMode: 240
; IeeeMode: 1
; LDSByteSize: 0 bytes/workgroup (compile time only)
; SGPRBlocks: 6
; VGPRBlocks: 8
; NumSGPRsForWavesPerEU: 49
; NumVGPRsForWavesPerEU: 70
; AccumOffset: 72
; Occupancy: 7
; WaveLimiterHint : 0
; COMPUTE_PGM_RSRC2:SCRATCH_EN: 0
; COMPUTE_PGM_RSRC2:USER_SGPR: 6
; COMPUTE_PGM_RSRC2:TRAP_HANDLER: 0
; COMPUTE_PGM_RSRC2:TGID_X_EN: 1
; COMPUTE_PGM_RSRC2:TGID_Y_EN: 0
; COMPUTE_PGM_RSRC2:TGID_Z_EN: 0
; COMPUTE_PGM_RSRC2:TIDIG_COMP_CNT: 0
; COMPUTE_PGM_RSRC3_GFX90A:ACCUM_OFFSET: 17
; COMPUTE_PGM_RSRC3_GFX90A:TG_SPLIT: 0
	.section	.text._ZN2at6native12_GLOBAL__N_125multi_tensor_apply_kernelINS1_32FusedOptimizerTensorListMetadataILi4EEENS1_20FusedAdamMathFunctorIN3c104HalfELi4ELNS0_9ADAM_MODEE0ELb0EEEJPKfdddddbSB_SB_EEEvT_T0_DpT1_,"axG",@progbits,_ZN2at6native12_GLOBAL__N_125multi_tensor_apply_kernelINS1_32FusedOptimizerTensorListMetadataILi4EEENS1_20FusedAdamMathFunctorIN3c104HalfELi4ELNS0_9ADAM_MODEE0ELb0EEEJPKfdddddbSB_SB_EEEvT_T0_DpT1_,comdat
	.globl	_ZN2at6native12_GLOBAL__N_125multi_tensor_apply_kernelINS1_32FusedOptimizerTensorListMetadataILi4EEENS1_20FusedAdamMathFunctorIN3c104HalfELi4ELNS0_9ADAM_MODEE0ELb0EEEJPKfdddddbSB_SB_EEEvT_T0_DpT1_ ; -- Begin function _ZN2at6native12_GLOBAL__N_125multi_tensor_apply_kernelINS1_32FusedOptimizerTensorListMetadataILi4EEENS1_20FusedAdamMathFunctorIN3c104HalfELi4ELNS0_9ADAM_MODEE0ELb0EEEJPKfdddddbSB_SB_EEEvT_T0_DpT1_
	.p2align	8
	.type	_ZN2at6native12_GLOBAL__N_125multi_tensor_apply_kernelINS1_32FusedOptimizerTensorListMetadataILi4EEENS1_20FusedAdamMathFunctorIN3c104HalfELi4ELNS0_9ADAM_MODEE0ELb0EEEJPKfdddddbSB_SB_EEEvT_T0_DpT1_,@function
_ZN2at6native12_GLOBAL__N_125multi_tensor_apply_kernelINS1_32FusedOptimizerTensorListMetadataILi4EEENS1_20FusedAdamMathFunctorIN3c104HalfELi4ELNS0_9ADAM_MODEE0ELb0EEEJPKfdddddbSB_SB_EEEvT_T0_DpT1_: ; @_ZN2at6native12_GLOBAL__N_125multi_tensor_apply_kernelINS1_32FusedOptimizerTensorListMetadataILi4EEENS1_20FusedAdamMathFunctorIN3c104HalfELi4ELNS0_9ADAM_MODEE0ELb0EEEJPKfdddddbSB_SB_EEEvT_T0_DpT1_
; %bb.0:
	v_mov_b32_e32 v1, s6
	global_load_ubyte v1, v1, s[4:5] offset:1728
	s_load_dwordx4 s[0:3], s[4:5], 0xd30
	s_load_dwordx8 s[8:15], s[4:5], 0xd10
	s_add_u32 s7, s4, s6
	s_mul_hi_u32 s16, s6, 3
	s_mul_i32 s6, s6, 3
	s_addc_u32 s17, s5, 0
	s_add_u32 s20, s7, s6
	s_addc_u32 s21, s17, s16
	s_waitcnt lgkmcnt(0)
	s_cmp_eq_u64 s[8:9], 0
	s_mov_b64 s[6:7], 0
	s_waitcnt vmcnt(0)
	v_readfirstlane_b32 s22, v1
	s_cbranch_scc1 .LBB3_20
; %bb.1:
	s_load_dword s8, s[8:9], 0x0
	s_andn2_b64 vcc, exec, s[6:7]
	s_waitcnt lgkmcnt(0)
	v_mov_b32_e32 v1, s8
	s_cbranch_vccnz .LBB3_3
.LBB3_2:
	v_cvt_f32_f64_e32 v1, s[10:11]
.LBB3_3:
	s_load_dwordx4 s[16:19], s[4:5], 0xd48
	s_waitcnt lgkmcnt(0)
	s_cmp_eq_u64 s[18:19], 0
	s_cselect_b64 s[6:7], -1, 0
	s_and_b64 vcc, exec, s[6:7]
	s_cbranch_vccnz .LBB3_5
; %bb.4:
	s_load_dword s6, s[18:19], 0x0
	s_waitcnt lgkmcnt(0)
	v_cmp_neq_f32_e64 s[6:7], s6, 1.0
.LBB3_5:
	s_andn2_b64 vcc, exec, s[6:7]
	s_cbranch_vccnz .LBB3_84
; %bb.6:
	s_load_dword s6, s[4:5], 0xd40
	v_cvt_f32_f64_e32 v33, s[12:13]
	v_cmp_eq_f32_e32 vcc, 1.0, v33
	v_cvt_f32_f64_e32 v35, s[0:1]
	v_cvt_f32_f64_e32 v34, s[14:15]
	s_waitcnt lgkmcnt(0)
	s_bitcmp1_b32 s6, 0
	s_cselect_b64 s[18:19], -1, 0
	s_and_b32 s6, s22, 0xff
	s_lshl_b32 s10, s6, 3
	s_load_dwordx2 s[6:7], s[4:5], s10 offset:0x5a0
	s_load_dword s8, s[20:21], 0x800
	s_mov_b32 s14, 0x3f2aaaab
	v_cvt_f32_f64_e32 v36, s[2:3]
	s_load_dwordx2 s[22:23], s[4:5], s10 offset:0x480
	s_waitcnt lgkmcnt(0)
	s_load_dword s9, s[6:7], 0x0
	v_mov_b32_e32 v22, 0x3ecccdef
	s_mov_b32 s20, 0x3f317218
	s_movk_i32 s12, 0x204
	s_mov_b32 s13, 0x42b17218
	s_waitcnt lgkmcnt(0)
	v_mov_b32_e32 v18, s9
	v_cndmask_b32_e64 v19, v18, 1.0, vcc
	v_cmp_eq_f32_e64 s[0:1], 0, v19
	v_cndmask_b32_e64 v20, |v33|, 1.0, s[0:1]
	v_frexp_mant_f32_e32 v2, v20
	v_cmp_gt_f32_e64 s[2:3], s14, v2
	v_cndmask_b32_e64 v3, 1.0, 2.0, s[2:3]
	v_mul_f32_e32 v2, v2, v3
	v_add_f32_e32 v5, 1.0, v2
	v_rcp_f32_e32 v10, v5
	v_add_f32_e32 v3, -1.0, v2
	v_add_f32_e32 v4, -1.0, v5
	v_sub_f32_e32 v2, v2, v4
	v_mul_f32_e32 v11, v3, v10
	v_mul_f32_e32 v4, v5, v11
	v_fma_f32 v6, v11, v5, -v4
	v_fmac_f32_e32 v6, v11, v2
	v_add_f32_e32 v2, v4, v6
	v_sub_f32_e32 v5, v3, v2
	v_pk_add_f32 v[8:9], v[2:3], v[4:5] neg_lo:[0,1] neg_hi:[0,1]
	v_mov_b32_e32 v7, v2
	v_pk_add_f32 v[2:3], v[8:9], v[6:7] neg_lo:[0,1] neg_hi:[0,1]
	v_add_f32_e32 v2, v2, v3
	v_add_f32_e32 v2, v5, v2
	v_mul_f32_e32 v3, v10, v2
	v_add_f32_e32 v2, v11, v3
	v_sub_f32_e32 v4, v2, v11
	v_sub_f32_e32 v12, v3, v4
	v_mul_f32_e32 v3, v2, v2
	v_fma_f32 v5, v2, v2, -v3
	v_add_f32_e32 v4, v12, v12
	v_fmac_f32_e32 v5, v2, v4
	v_add_f32_e32 v4, v3, v5
	v_mov_b32_e32 v6, 0x3e91f4c4
	v_fmac_f32_e32 v6, 0x3e76c4e1, v4
	v_fma_f32 v6, v4, v6, v22
	v_sub_f32_e32 v3, v4, v3
	v_sub_f32_e32 v13, v5, v3
	v_mul_f32_e32 v3, v4, v6
	v_fma_f32 v5, v4, v6, -v3
	v_fmac_f32_e32 v5, v13, v6
	v_add_f32_e32 v6, v3, v5
	v_add_f32_e32 v7, 0x3f2aaaaa, v6
	v_sub_f32_e32 v3, v6, v3
	v_sub_f32_e32 v3, v5, v3
	v_add_f32_e32 v5, 0xbf2aaaaa, v7
	v_add_f32_e32 v3, 0x31739010, v3
	v_sub_f32_e32 v5, v6, v5
	v_pk_mul_f32 v[8:9], v[2:3], v[4:5]
	v_fma_f32 v6, v4, v2, -v8
	v_pk_add_f32 v[10:11], v[2:3], v[4:5]
	v_fmac_f32_e32 v6, v4, v12
	v_mov_b32_e32 v9, v11
	v_fmac_f32_e32 v6, v13, v2
	v_pk_add_f32 v[4:5], v[8:9], v[6:7]
	v_sub_f32_e32 v3, v4, v8
	v_sub_f32_e32 v3, v6, v3
	;; [unrolled: 1-line block ×3, first 2 shown]
	v_add_f32_e32 v9, v11, v6
	v_mov_b32_e32 v6, v5
	v_pk_mul_f32 v[6:7], v[4:5], v[6:7]
	v_cvt_f64_f32_e32 v[10:11], v20
	v_frexp_exp_i32_f64_e32 v7, v[10:11]
	v_subbrev_co_u32_e64 v7, s[2:3], 0, v7, s[2:3]
	v_cvt_f32_i32_e32 v7, v7
	v_fma_f32 v8, v4, v5, -v6
	v_fmac_f32_e32 v8, v4, v9
	v_fmac_f32_e32 v8, v3, v5
	v_mul_f32_e32 v4, 0x3f317218, v7
	v_fma_f32 v10, v7, s20, -v4
	v_fmac_f32_e32 v10, 0xb102e308, v7
	v_ldexp_f32 v11, v2, 1
	v_add_f32_e32 v5, v6, v8
	v_pk_add_f32 v[2:3], v[4:5], v[10:11]
	v_ldexp_f32 v14, v12, 1
	v_mov_b32_e32 v12, v5
	v_mov_b32_e32 v13, v3
	;; [unrolled: 1-line block ×3, first 2 shown]
	v_pk_add_f32 v[6:7], v[12:13], v[6:7] neg_lo:[0,1] neg_hi:[0,1]
	v_mov_b32_e32 v9, v5
	v_pk_add_f32 v[6:7], v[8:9], v[6:7] neg_lo:[0,1] neg_hi:[0,1]
	v_add_f32_e32 v5, v14, v6
	v_add_f32_e32 v5, v5, v7
	v_pk_add_f32 v[6:7], v[2:3], v[4:5] neg_lo:[0,1] neg_hi:[0,1]
	v_pk_add_f32 v[8:9], v[2:3], v[4:5]
	v_mov_b32_e32 v12, v6
	v_mov_b32_e32 v13, v9
	;; [unrolled: 1-line block ×3, first 2 shown]
	v_pk_add_f32 v[12:13], v[10:11], v[12:13]
	v_mov_b32_e32 v4, v13
	v_pk_add_f32 v[14:15], v[4:5], v[2:3] neg_lo:[0,1] neg_hi:[0,1]
	v_mov_b32_e32 v15, v14
	v_mov_b32_e32 v12, v9
	;; [unrolled: 1-line block ×4, first 2 shown]
	v_pk_add_f32 v[6:7], v[10:11], v[6:7] neg_lo:[0,1] neg_hi:[0,1]
	v_pk_add_f32 v[16:17], v[8:9], v[14:15] neg_lo:[0,1] neg_hi:[0,1]
	;; [unrolled: 1-line block ×3, first 2 shown]
	v_mov_b32_e32 v10, v5
	v_pk_add_f32 v[2:3], v[10:11], v[2:3] neg_lo:[0,1] neg_hi:[0,1]
	v_mov_b32_e32 v16, v6
	v_pk_add_f32 v[8:9], v[16:17], v[2:3]
	v_mov_b32_e32 v10, v9
	v_pk_add_f32 v[10:11], v[8:9], v[10:11]
	v_pk_add_f32 v[4:5], v[4:5], v[10:11]
	v_mov_b32_e32 v7, v13
	v_mov_b32_e32 v9, v4
	v_pk_add_f32 v[12:13], v[8:9], v[6:7] neg_lo:[0,1] neg_hi:[0,1]
	v_mov_b32_e32 v3, v10
	v_sub_f32_e32 v5, v8, v12
	v_pk_add_f32 v[2:3], v[2:3], v[12:13] neg_lo:[0,1] neg_hi:[0,1]
	v_sub_f32_e32 v5, v6, v5
	v_add_f32_e32 v2, v2, v5
	v_add_f32_e32 v2, v2, v3
	;; [unrolled: 1-line block ×3, first 2 shown]
	v_sub_f32_e32 v4, v3, v4
	v_sub_f32_e32 v2, v2, v4
	v_mul_f32_e32 v4, v19, v3
	v_fma_f32 v3, v19, v3, -v4
	v_fmac_f32_e32 v3, v19, v2
	v_add_f32_e32 v2, v4, v3
	v_cmp_class_f32_e64 s[2:3], v4, s12
	v_sub_f32_e32 v5, v2, v4
	v_cndmask_b32_e64 v2, v2, v4, s[2:3]
	v_mov_b32_e32 v23, 0x37000000
	v_cmp_eq_f32_e64 s[2:3], s13, v2
	v_cndmask_b32_e64 v4, 0, v23, s[2:3]
	v_sub_f32_e32 v3, v3, v5
	v_sub_f32_e32 v5, v2, v4
	s_mov_b32 s21, 0x3fb8aa3b
	v_mul_f32_e32 v6, 0x3fb8aa3b, v5
	v_fma_f32 v7, v5, s21, -v6
	v_rndne_f32_e32 v8, v6
	v_fmac_f32_e32 v7, 0x32a5705f, v5
	v_sub_f32_e32 v6, v6, v8
	v_add_f32_e32 v6, v6, v7
	v_exp_f32_e32 v6, v6
	v_cvt_i32_f32_e32 v7, v8
	s_mov_b32 s9, 0x7f800000
	v_cmp_neq_f32_e64 s[2:3], |v2|, s9
	s_mov_b32 s24, 0xc2ce8ed0
	v_cndmask_b32_e64 v2, 0, v3, s[2:3]
	v_ldexp_f32 v3, v6, v7
	v_cmp_ngt_f32_e64 s[2:3], s24, v5
	v_cndmask_b32_e64 v3, 0, v3, s[2:3]
	v_mov_b32_e32 v24, 0x7f800000
	v_cmp_nlt_f32_e64 s[2:3], s13, v5
	v_add_f32_e32 v2, v4, v2
	v_cndmask_b32_e64 v3, v24, v3, s[2:3]
	v_fma_f32 v2, v3, v2, v3
	v_cmp_class_f32_e64 s[2:3], v3, s12
	v_cndmask_b32_e64 v2, v2, v3, s[2:3]
	v_trunc_f32_e32 v3, v19
	v_cndmask_b32_e64 v25, v33, 1.0, s[0:1]
	v_cmp_eq_f32_e64 s[0:1], v3, v19
	v_mul_f32_e32 v3, 0.5, v19
	v_trunc_f32_e32 v4, v3
	v_cmp_neq_f32_e64 s[2:3], v4, v3
	s_and_b64 s[2:3], s[0:1], s[2:3]
	v_cndmask_b32_e64 v3, 1.0, v25, s[2:3]
	s_brev_b32 s15, -2
	v_mov_b32_e32 v26, 0x7fc00000
	v_bfi_b32 v2, s15, v2, v3
	v_cndmask_b32_e64 v3, v26, v2, s[0:1]
	v_cmp_gt_f32_e64 s[0:1], 0, v25
	v_cndmask_b32_e64 v2, v2, v3, s[0:1]
	v_cndmask_b32_e64 v3, |v18|, 1.0, vcc
	v_cmp_neq_f32_e32 vcc, v19, v3
	v_cmp_gt_f32_e64 s[0:1], 1.0, v20
	s_xor_b64 s[0:1], vcc, s[0:1]
	v_cndmask_b32_e64 v4, v3, 0, s[0:1]
	v_cmp_eq_f32_e32 vcc, 1.0, v20
	v_cmp_eq_f32_e64 s[0:1], 0, v25
	v_cmp_gt_f32_e64 s[6:7], 0, v19
	v_cndmask_b32_e32 v4, v4, v20, vcc
	v_cmp_eq_f32_e32 vcc, s9, v3
	s_xor_b64 s[6:7], s[6:7], s[0:1]
	v_cndmask_b32_e32 v2, v2, v4, vcc
	v_cmp_eq_f32_e32 vcc, s9, v20
	v_cndmask_b32_e64 v3, v24, 0, s[6:7]
	v_cndmask_b32_e64 v4, 0, v25, s[2:3]
	v_bfi_b32 v3, s15, v3, v4
	s_or_b64 vcc, vcc, s[0:1]
	v_cndmask_b32_e32 v20, v2, v3, vcc
	v_cmp_eq_f32_e32 vcc, 1.0, v34
	v_cndmask_b32_e64 v27, v18, 1.0, vcc
	v_cmp_eq_f32_e64 s[0:1], 0, v27
	v_cndmask_b32_e64 v28, |v34|, 1.0, s[0:1]
	v_frexp_mant_f32_e32 v2, v28
	v_cmp_gt_f32_e64 s[2:3], s14, v2
	v_cndmask_b32_e64 v3, 1.0, 2.0, s[2:3]
	v_mul_f32_e32 v2, v2, v3
	v_add_f32_e32 v5, 1.0, v2
	v_rcp_f32_e32 v10, v5
	v_add_f32_e32 v3, -1.0, v5
	v_sub_f32_e32 v7, v2, v3
	v_add_f32_e32 v3, -1.0, v2
	v_mul_f32_e32 v11, v3, v10
	v_mul_f32_e32 v4, v5, v11
	v_fma_f32 v6, v11, v5, -v4
	v_fmac_f32_e32 v6, v11, v7
	v_add_f32_e32 v2, v4, v6
	v_sub_f32_e32 v5, v3, v2
	v_pk_add_f32 v[8:9], v[2:3], v[4:5] neg_lo:[0,1] neg_hi:[0,1]
	v_mov_b32_e32 v7, v2
	v_pk_add_f32 v[2:3], v[8:9], v[6:7] neg_lo:[0,1] neg_hi:[0,1]
	v_add_f32_e32 v2, v2, v3
	v_add_f32_e32 v2, v5, v2
	v_mul_f32_e32 v3, v10, v2
	v_add_f32_e32 v2, v11, v3
	v_sub_f32_e32 v4, v2, v11
	v_sub_f32_e32 v12, v3, v4
	v_mul_f32_e32 v3, v2, v2
	v_fma_f32 v5, v2, v2, -v3
	v_add_f32_e32 v4, v12, v12
	v_fmac_f32_e32 v5, v2, v4
	v_mov_b32_e32 v21, 0x3e91f4c4
	v_add_f32_e32 v4, v3, v5
	v_fmac_f32_e32 v21, 0x3e76c4e1, v4
	v_fmac_f32_e32 v22, v4, v21
	v_sub_f32_e32 v3, v4, v3
	v_sub_f32_e32 v13, v5, v3
	v_mul_f32_e32 v3, v4, v22
	v_fma_f32 v5, v4, v22, -v3
	v_fmac_f32_e32 v5, v13, v22
	v_add_f32_e32 v6, v3, v5
	v_add_f32_e32 v7, 0x3f2aaaaa, v6
	v_sub_f32_e32 v3, v6, v3
	v_sub_f32_e32 v3, v5, v3
	v_add_f32_e32 v5, 0xbf2aaaaa, v7
	v_add_f32_e32 v3, 0x31739010, v3
	v_sub_f32_e32 v5, v6, v5
	v_pk_mul_f32 v[8:9], v[2:3], v[4:5]
	v_fma_f32 v6, v4, v2, -v8
	v_pk_add_f32 v[10:11], v[2:3], v[4:5]
	v_fmac_f32_e32 v6, v4, v12
	v_mov_b32_e32 v9, v11
	v_fmac_f32_e32 v6, v13, v2
	v_pk_add_f32 v[4:5], v[8:9], v[6:7]
	v_sub_f32_e32 v3, v4, v8
	v_sub_f32_e32 v3, v6, v3
	;; [unrolled: 1-line block ×3, first 2 shown]
	v_add_f32_e32 v10, v11, v6
	v_mov_b32_e32 v6, v5
	v_pk_mul_f32 v[6:7], v[4:5], v[6:7]
	v_cvt_f64_f32_e32 v[8:9], v28
	v_frexp_exp_i32_f64_e32 v7, v[8:9]
	v_subbrev_co_u32_e64 v7, s[2:3], 0, v7, s[2:3]
	v_cvt_f32_i32_e32 v7, v7
	v_fma_f32 v8, v4, v5, -v6
	v_fmac_f32_e32 v8, v4, v10
	v_fmac_f32_e32 v8, v3, v5
	v_mul_f32_e32 v4, 0x3f317218, v7
	v_fma_f32 v10, v7, s20, -v4
	v_fmac_f32_e32 v10, 0xb102e308, v7
	v_ldexp_f32 v11, v2, 1
	v_add_f32_e32 v5, v6, v8
	v_pk_add_f32 v[2:3], v[4:5], v[10:11]
	v_ldexp_f32 v14, v12, 1
	v_mov_b32_e32 v12, v5
	v_mov_b32_e32 v13, v3
	v_mov_b32_e32 v7, v11
	v_pk_add_f32 v[6:7], v[12:13], v[6:7] neg_lo:[0,1] neg_hi:[0,1]
	v_mov_b32_e32 v9, v5
	v_pk_add_f32 v[6:7], v[8:9], v[6:7] neg_lo:[0,1] neg_hi:[0,1]
	v_add_f32_e32 v5, v14, v6
	v_add_f32_e32 v5, v5, v7
	v_pk_add_f32 v[6:7], v[2:3], v[4:5] neg_lo:[0,1] neg_hi:[0,1]
	v_pk_add_f32 v[8:9], v[2:3], v[4:5]
	v_mov_b32_e32 v12, v6
	v_mov_b32_e32 v13, v9
	;; [unrolled: 1-line block ×3, first 2 shown]
	v_pk_add_f32 v[12:13], v[10:11], v[12:13]
	v_mov_b32_e32 v4, v13
	v_pk_add_f32 v[14:15], v[4:5], v[2:3] neg_lo:[0,1] neg_hi:[0,1]
	v_mov_b32_e32 v15, v14
	v_mov_b32_e32 v12, v9
	;; [unrolled: 1-line block ×4, first 2 shown]
	v_pk_add_f32 v[6:7], v[10:11], v[6:7] neg_lo:[0,1] neg_hi:[0,1]
	v_pk_add_f32 v[16:17], v[8:9], v[14:15] neg_lo:[0,1] neg_hi:[0,1]
	;; [unrolled: 1-line block ×3, first 2 shown]
	v_mov_b32_e32 v10, v5
	v_pk_add_f32 v[2:3], v[10:11], v[2:3] neg_lo:[0,1] neg_hi:[0,1]
	v_mov_b32_e32 v16, v6
	v_pk_add_f32 v[8:9], v[16:17], v[2:3]
	v_mov_b32_e32 v10, v9
	v_pk_add_f32 v[10:11], v[8:9], v[10:11]
	v_pk_add_f32 v[4:5], v[4:5], v[10:11]
	v_mov_b32_e32 v7, v13
	v_mov_b32_e32 v9, v4
	v_pk_add_f32 v[12:13], v[8:9], v[6:7] neg_lo:[0,1] neg_hi:[0,1]
	v_mov_b32_e32 v3, v10
	v_sub_f32_e32 v5, v8, v12
	v_pk_add_f32 v[2:3], v[2:3], v[12:13] neg_lo:[0,1] neg_hi:[0,1]
	v_sub_f32_e32 v5, v6, v5
	v_add_f32_e32 v2, v2, v5
	v_add_f32_e32 v2, v2, v3
	;; [unrolled: 1-line block ×3, first 2 shown]
	v_sub_f32_e32 v4, v3, v4
	v_sub_f32_e32 v2, v2, v4
	v_mul_f32_e32 v4, v27, v3
	v_fma_f32 v3, v27, v3, -v4
	v_fmac_f32_e32 v3, v27, v2
	v_add_f32_e32 v2, v4, v3
	v_cmp_class_f32_e64 s[2:3], v4, s12
	v_sub_f32_e32 v5, v2, v4
	v_cndmask_b32_e64 v2, v2, v4, s[2:3]
	v_cmp_eq_f32_e64 s[2:3], s13, v2
	v_cndmask_b32_e64 v4, 0, v23, s[2:3]
	v_sub_f32_e32 v3, v3, v5
	v_sub_f32_e32 v5, v2, v4
	v_mul_f32_e32 v6, 0x3fb8aa3b, v5
	v_fma_f32 v7, v5, s21, -v6
	v_rndne_f32_e32 v8, v6
	v_fmac_f32_e32 v7, 0x32a5705f, v5
	v_sub_f32_e32 v6, v6, v8
	v_add_f32_e32 v6, v6, v7
	v_exp_f32_e32 v6, v6
	v_cvt_i32_f32_e32 v7, v8
	v_cmp_neq_f32_e64 s[2:3], |v2|, s9
	v_cndmask_b32_e64 v2, 0, v3, s[2:3]
	v_cmp_ngt_f32_e64 s[2:3], s24, v5
	v_ldexp_f32 v3, v6, v7
	v_cndmask_b32_e64 v3, 0, v3, s[2:3]
	v_cmp_nlt_f32_e64 s[2:3], s13, v5
	v_add_f32_e32 v2, v4, v2
	v_cndmask_b32_e64 v3, v24, v3, s[2:3]
	v_fma_f32 v2, v3, v2, v3
	v_cmp_class_f32_e64 s[2:3], v3, s12
	v_trunc_f32_e32 v4, v27
	v_cndmask_b32_e64 v2, v2, v3, s[2:3]
	v_cndmask_b32_e64 v3, v34, 1.0, s[0:1]
	v_cmp_eq_f32_e64 s[0:1], v4, v27
	v_mul_f32_e32 v4, 0.5, v27
	v_trunc_f32_e32 v5, v4
	v_cmp_neq_f32_e64 s[2:3], v5, v4
	s_and_b64 s[2:3], s[0:1], s[2:3]
	v_cndmask_b32_e64 v4, 1.0, v3, s[2:3]
	v_bfi_b32 v2, s15, v2, v4
	v_cndmask_b32_e64 v4, v26, v2, s[0:1]
	v_cmp_gt_f32_e64 s[0:1], 0, v3
	v_cndmask_b32_e64 v2, v2, v4, s[0:1]
	v_cndmask_b32_e64 v4, |v18|, 1.0, vcc
	v_cmp_neq_f32_e32 vcc, v27, v4
	v_cmp_gt_f32_e64 s[0:1], 1.0, v28
	s_xor_b64 s[0:1], vcc, s[0:1]
	v_cndmask_b32_e64 v5, v4, 0, s[0:1]
	v_cmp_eq_f32_e32 vcc, 1.0, v28
	v_cmp_eq_f32_e64 s[0:1], 0, v3
	v_cmp_gt_f32_e64 s[6:7], 0, v27
	v_cndmask_b32_e32 v5, v5, v28, vcc
	v_cmp_eq_f32_e32 vcc, s9, v4
	s_xor_b64 s[6:7], s[6:7], s[0:1]
	v_cndmask_b32_e32 v2, v2, v5, vcc
	v_cmp_eq_f32_e32 vcc, s9, v28
	v_cndmask_b32_e64 v4, v24, 0, s[6:7]
	v_cndmask_b32_e64 v5, 0, v3, s[2:3]
	v_bfi_b32 v4, s15, v4, v5
	s_or_b64 vcc, vcc, s[0:1]
	v_cndmask_b32_e32 v2, v2, v4, vcc
	v_sub_f32_e32 v2, 1.0, v2
	v_cmp_o_f32_e32 vcc, v3, v27
	v_cndmask_b32_e32 v2, v26, v2, vcc
	s_mov_b32 s0, 0xf800000
	v_mul_f32_e32 v3, 0x4f800000, v2
	v_cmp_gt_f32_e32 vcc, s0, v2
	v_cndmask_b32_e32 v2, v2, v3, vcc
	v_sqrt_f32_e32 v3, v2
	v_sub_f32_e32 v4, 1.0, v20
	v_cmp_o_f32_e64 s[0:1], v25, v19
	v_cndmask_b32_e64 v5, v26, v4, s[0:1]
	v_add_u32_e32 v4, -1, v3
	v_fma_f32 v6, -v4, v3, v2
	v_cmp_ge_f32_e64 s[0:1], 0, v6
	v_add_u32_e32 v6, 1, v3
	v_cndmask_b32_e64 v4, v3, v4, s[0:1]
	v_fma_f32 v3, -v6, v3, v2
	s_load_dwordx2 s[34:35], s[4:5], s10 offset:0x0
	v_cmp_lt_f32_e64 s[0:1], 0, v3
	s_ashr_i32 s9, s8, 31
	v_cndmask_b32_e64 v3, v4, v6, s[0:1]
	s_lshl_b64 s[0:1], s[8:9], 16
	s_sub_u32 s14, s22, s0
	s_subb_u32 s15, s23, s1
	s_lshl_b64 s[20:21], s[8:9], 17
	s_load_dwordx2 s[12:13], s[4:5], s10 offset:0x120
	s_load_dwordx2 s[28:29], s[4:5], s10 offset:0x240
	;; [unrolled: 1-line block ×3, first 2 shown]
	s_waitcnt lgkmcnt(0)
	s_add_u32 s33, s34, s20
	s_addc_u32 s36, s35, s21
	s_and_b32 s6, s33, 7
	s_add_u32 s37, s12, s20
	s_mov_b32 s11, 0
	s_addc_u32 s38, s13, s21
	s_and_b32 s10, s37, 7
	s_cmp_lg_u64 s[10:11], 0
	s_cselect_b64 s[0:1], -1, 0
	s_add_u32 s39, s28, s20
	s_addc_u32 s40, s29, s21
	s_add_u32 s41, s30, s20
	s_addc_u32 s42, s31, s21
	s_or_b32 s2, s41, s39
	s_and_b32 s2, s2, 7
	s_cmp_lg_u32 s2, 0
	s_cselect_b64 s[2:3], -1, 0
	s_or_b64 s[0:1], s[2:3], s[0:1]
	s_and_b32 s2, s22, 3
	s_or_b32 s10, s6, s2
	v_mul_f32_e32 v4, 0x37800000, v3
	s_cmp_lg_u64 s[10:11], 0
	v_cndmask_b32_e32 v3, v3, v4, vcc
	v_mov_b32_e32 v4, 0x260
	s_cselect_b64 s[2:3], -1, 0
	v_cmp_class_f32_e32 vcc, v2, v4
	s_or_b64 s[0:1], s[0:1], s[2:3]
	v_cndmask_b32_e32 v37, v3, v2, vcc
	s_andn2_b64 vcc, exec, s[0:1]
	s_mov_b64 s[0:1], -1
	s_cbranch_vccz .LBB3_22
; %bb.7:
	v_mov_b32_e32 v3, 0
	v_lshlrev_b32_e32 v2, 2, v0
	v_cmp_gt_i64_e32 vcc, s[14:15], v[2:3]
	s_and_saveexec_b64 s[22:23], vcc
	s_cbranch_execz .LBB3_21
; %bb.8:
	v_div_scale_f32 v2, s[0:1], v5, v5, v1
	v_rcp_f32_e32 v4, v2
	s_load_dword s6, s[4:5], 0xd64
	s_cmp_lg_u64 s[16:17], 0
	s_cselect_b64 s[2:3], -1, 0
	v_fma_f32 v6, -v2, v4, 1.0
	v_fmac_f32_e32 v4, v6, v4
	v_div_scale_f32 v6, vcc, v1, v5, v1
	v_mul_f32_e32 v7, v6, v4
	v_fma_f32 v8, -v2, v7, v6
	v_fmac_f32_e32 v7, v8, v4
	v_fma_f32 v2, -v2, v7, v6
	v_div_fmas_f32 v2, v2, v4, v7
	s_waitcnt lgkmcnt(0)
	s_and_b32 s6, s6, 0xffff
	v_div_fixup_f32 v24, v2, v5, v1
	v_add_lshl_u32 v2, v0, s6, 2
	v_cndmask_b32_e64 v6, 0, 1, s[2:3]
	s_mov_b64 s[24:25], 0
	v_cmp_neq_f32_e64 s[0:1], 0, v35
	s_lshl_b32 s10, s6, 2
	v_lshlrev_b32_e32 v4, 3, v0
	s_lshl_b32 s43, s6, 3
	v_cmp_ne_u32_e64 s[2:3], 1, v6
	s_mov_b32 s44, 0xf800000
	v_mov_b32_e32 v25, 0x260
	s_mov_b64 s[26:27], 0xffff
	v_pk_mov_b32 v[6:7], v[2:3], v[2:3] op_sel:[0,1]
	s_branch .LBB3_10
.LBB3_9:                                ;   in Loop: Header=BB3_10 Depth=1
	v_cmp_le_i64_e32 vcc, s[14:15], v[6:7]
	v_cmp_lt_u64_e64 s[6:7], s[26:27], v[6:7]
	s_or_b64 s[6:7], vcc, s[6:7]
	s_add_u32 s33, s33, s43
	s_addc_u32 s36, s36, 0
	s_add_u32 s41, s41, s43
	s_addc_u32 s42, s42, 0
	v_cvt_f16_f32_e32 v2, v17
	v_cvt_f16_f32_e32 v12, v28
	;; [unrolled: 1-line block ×4, first 2 shown]
	s_add_u32 s37, s37, s43
	v_cvt_f16_f32_e32 v14, v18
	v_cvt_f16_f32_e32 v15, v27
	;; [unrolled: 1-line block ×4, first 2 shown]
	s_addc_u32 s38, s38, 0
	s_add_u32 s39, s39, s43
	s_addc_u32 s40, s40, 0
	v_pack_b32_f16 v13, v12, v2
	v_pack_b32_f16 v12, v16, v17
	v_mov_b32_e32 v2, s11
	s_and_b64 s[6:7], exec, s[6:7]
	v_add_co_u32_e32 v6, vcc, s10, v6
	global_store_dwordx2 v[8:9], v[12:13], off
	v_pack_b32_f16 v9, v15, v14
	v_pack_b32_f16 v8, v19, v18
	s_or_b64 s[24:25], s[6:7], s[24:25]
	v_addc_co_u32_e32 v7, vcc, v7, v2, vcc
	global_store_dwordx2 v[10:11], v[8:9], off
	s_andn2_b64 exec, exec, s[24:25]
	s_cbranch_execz .LBB3_21
.LBB3_10:                               ; =>This Inner Loop Header: Depth=1
	v_mov_b32_e32 v2, s36
	v_add_co_u32_e32 v14, vcc, s33, v4
	v_addc_co_u32_e32 v15, vcc, 0, v2, vcc
	v_mov_b32_e32 v2, s38
	v_add_co_u32_e32 v12, vcc, s37, v4
	v_addc_co_u32_e32 v13, vcc, 0, v2, vcc
	global_load_dwordx2 v[22:23], v[12:13], off
	v_mov_b32_e32 v2, s40
	v_add_co_u32_e32 v8, vcc, s39, v4
	v_addc_co_u32_e32 v9, vcc, 0, v2, vcc
	v_mov_b32_e32 v2, s42
	v_add_co_u32_e32 v10, vcc, s41, v4
	v_addc_co_u32_e32 v11, vcc, 0, v2, vcc
	global_load_dwordx2 v[18:19], v[14:15], off
	global_load_dwordx2 v[16:17], v[8:9], off
	;; [unrolled: 1-line block ×3, first 2 shown]
	s_and_b64 vcc, exec, s[2:3]
	s_waitcnt vmcnt(3)
	v_cvt_f32_f16_e32 v2, v22
	s_cbranch_vccnz .LBB3_12
; %bb.11:                               ;   in Loop: Header=BB3_10 Depth=1
	global_load_dword v26, v3, s[16:17]
	s_waitcnt vmcnt(0)
	v_div_scale_f32 v27, s[6:7], v26, v26, v2
	v_rcp_f32_e32 v28, v27
	v_div_scale_f32 v29, vcc, v2, v26, v2
	v_fma_f32 v30, -v27, v28, 1.0
	v_fmac_f32_e32 v28, v30, v28
	v_mul_f32_e32 v30, v29, v28
	v_fma_f32 v31, -v27, v30, v29
	v_fmac_f32_e32 v30, v31, v28
	v_fma_f32 v27, -v27, v30, v29
	v_div_fmas_f32 v27, v27, v28, v30
	v_div_fixup_f32 v2, v27, v26, v2
.LBB3_12:                               ;   in Loop: Header=BB3_10 Depth=1
	v_cvt_f32_f16_sdwa v22, v22 dst_sel:DWORD dst_unused:UNUSED_PAD src0_sel:WORD_1
	s_and_b64 vcc, exec, s[2:3]
	s_cbranch_vccnz .LBB3_14
; %bb.13:                               ;   in Loop: Header=BB3_10 Depth=1
	global_load_dword v26, v3, s[16:17]
	s_waitcnt vmcnt(0)
	v_div_scale_f32 v27, s[6:7], v26, v26, v22
	v_rcp_f32_e32 v28, v27
	v_div_scale_f32 v29, vcc, v22, v26, v22
	v_fma_f32 v30, -v27, v28, 1.0
	v_fmac_f32_e32 v28, v30, v28
	v_mul_f32_e32 v30, v29, v28
	v_fma_f32 v31, -v27, v30, v29
	v_fmac_f32_e32 v30, v31, v28
	v_fma_f32 v27, -v27, v30, v29
	v_div_fmas_f32 v27, v27, v28, v30
	v_div_fixup_f32 v22, v27, v26, v22
.LBB3_14:                               ;   in Loop: Header=BB3_10 Depth=1
	v_cvt_f32_f16_e32 v26, v23
	s_and_b64 vcc, exec, s[2:3]
	s_cbranch_vccnz .LBB3_16
; %bb.15:                               ;   in Loop: Header=BB3_10 Depth=1
	global_load_dword v27, v3, s[16:17]
	s_waitcnt vmcnt(0)
	v_div_scale_f32 v28, s[6:7], v27, v27, v26
	v_rcp_f32_e32 v29, v28
	v_div_scale_f32 v30, vcc, v26, v27, v26
	v_fma_f32 v31, -v28, v29, 1.0
	v_fmac_f32_e32 v29, v31, v29
	v_mul_f32_e32 v31, v30, v29
	v_fma_f32 v32, -v28, v31, v30
	v_fmac_f32_e32 v31, v32, v29
	v_fma_f32 v28, -v28, v31, v30
	v_div_fmas_f32 v28, v28, v29, v31
	v_div_fixup_f32 v26, v28, v27, v26
.LBB3_16:                               ;   in Loop: Header=BB3_10 Depth=1
	v_cvt_f32_f16_sdwa v23, v23 dst_sel:DWORD dst_unused:UNUSED_PAD src0_sel:WORD_1
	s_and_b64 vcc, exec, s[2:3]
	s_cbranch_vccnz .LBB3_18
; %bb.17:                               ;   in Loop: Header=BB3_10 Depth=1
	global_load_dword v27, v3, s[16:17]
	s_waitcnt vmcnt(0)
	v_div_scale_f32 v28, s[6:7], v27, v27, v23
	v_rcp_f32_e32 v29, v28
	v_div_scale_f32 v30, vcc, v23, v27, v23
	v_fma_f32 v31, -v28, v29, 1.0
	v_fmac_f32_e32 v29, v31, v29
	v_mul_f32_e32 v31, v30, v29
	v_fma_f32 v32, -v28, v31, v30
	v_fmac_f32_e32 v31, v32, v29
	v_fma_f32 v28, -v28, v31, v30
	v_div_fmas_f32 v28, v28, v29, v31
	v_div_fixup_f32 v23, v28, v27, v23
.LBB3_18:                               ;   in Loop: Header=BB3_10 Depth=1
	v_cndmask_b32_e64 v27, v26, -v26, s[18:19]
	s_waitcnt vmcnt(2)
	v_fma_mix_f32 v28, v35, v19, v27 op_sel_hi:[0,1,0]
	v_cndmask_b32_e64 v28, v27, v28, s[0:1]
	v_mul_f32_e32 v27, v28, v28
	v_fma_f32 v27, -v34, v27, v27
	s_waitcnt vmcnt(0)
	v_fma_mix_f32 v27, v34, v21, v27 op_sel_hi:[0,1,0]
	v_mul_f32_e32 v29, 0x4f800000, v27
	v_cmp_gt_f32_e32 vcc, s44, v27
	v_cndmask_b32_e32 v29, v27, v29, vcc
	v_sqrt_f32_e32 v30, v29
	v_fma_f32 v28, -v33, v28, v28
	v_fma_mix_f32 v28, v33, v17, v28 op_sel_hi:[0,1,0]
	v_add_u32_e32 v31, -1, v30
	v_fma_f32 v38, -v31, v30, v29
	v_add_u32_e32 v32, 1, v30
	v_cmp_ge_f32_e64 s[6:7], 0, v38
	v_cndmask_b32_e64 v31, v30, v31, s[6:7]
	v_fma_f32 v30, -v32, v30, v29
	v_cmp_lt_f32_e64 s[6:7], 0, v30
	v_cndmask_b32_e64 v30, v31, v32, s[6:7]
	v_mul_f32_e32 v31, 0x37800000, v30
	v_cndmask_b32_e32 v30, v30, v31, vcc
	v_cmp_class_f32_e32 vcc, v29, v25
	v_cndmask_b32_e32 v29, v30, v29, vcc
	v_div_scale_f32 v30, s[6:7], v37, v37, v29
	v_rcp_f32_e32 v31, v30
	v_fma_f32 v32, -v30, v31, 1.0
	v_fmac_f32_e32 v31, v32, v31
	v_div_scale_f32 v32, vcc, v29, v37, v29
	v_mul_f32_e32 v38, v32, v31
	v_fma_f32 v39, -v30, v38, v32
	v_fmac_f32_e32 v38, v39, v31
	v_fma_f32 v30, -v30, v38, v32
	v_div_fmas_f32 v30, v30, v31, v38
	v_div_fixup_f32 v29, v30, v37, v29
	v_add_f32_e32 v30, v29, v36
	v_mul_f32_e32 v31, v24, v28
	v_div_scale_f32 v29, s[6:7], v30, v30, v31
	v_rcp_f32_e32 v32, v29
	v_cvt_f32_f16_e32 v38, v19
	v_fma_f32 v39, -v29, v32, 1.0
	v_fmac_f32_e32 v32, v39, v32
	v_div_scale_f32 v39, vcc, v31, v30, v31
	v_mul_f32_e32 v40, v39, v32
	v_fma_f32 v41, -v29, v40, v39
	v_fmac_f32_e32 v40, v41, v32
	v_fma_f32 v39, -v29, v40, v39
	v_cndmask_b32_e64 v29, v22, -v22, s[18:19]
	v_fma_mix_f32 v41, v35, v18, v29 op_sel:[0,1,0] op_sel_hi:[0,1,0]
	v_cndmask_b32_e64 v41, v29, v41, s[0:1]
	v_mul_f32_e32 v29, v41, v41
	v_fma_f32 v29, -v34, v29, v29
	v_fma_mix_f32 v29, v34, v20, v29 op_sel:[0,1,0] op_sel_hi:[0,1,0]
	v_mul_f32_e32 v42, 0x4f800000, v29
	v_cmp_gt_f32_e64 s[6:7], s44, v29
	v_cndmask_b32_e64 v42, v29, v42, s[6:7]
	v_sqrt_f32_e32 v43, v42
	v_div_fmas_f32 v32, v39, v32, v40
	v_div_fixup_f32 v30, v32, v30, v31
	v_sub_f32_e32 v38, v38, v30
	v_add_u32_e32 v31, -1, v43
	v_fma_f32 v32, -v31, v43, v42
	v_cmp_ge_f32_e32 vcc, 0, v32
	v_add_u32_e32 v32, 1, v43
	v_fma_f32 v39, -v32, v43, v42
	v_cndmask_b32_e32 v31, v43, v31, vcc
	v_cmp_lt_f32_e32 vcc, 0, v39
	v_cndmask_b32_e32 v31, v31, v32, vcc
	v_mul_f32_e32 v32, 0x37800000, v31
	v_cndmask_b32_e64 v31, v31, v32, s[6:7]
	v_cmp_class_f32_e32 vcc, v42, v25
	v_cndmask_b32_e32 v31, v31, v42, vcc
	v_div_scale_f32 v32, s[6:7], v37, v37, v31
	v_rcp_f32_e32 v39, v32
	v_fma_f32 v30, -v33, v41, v41
	v_fma_mix_f32 v30, v33, v16, v30 op_sel:[0,1,0] op_sel_hi:[0,1,0]
	v_fma_f32 v40, -v32, v39, 1.0
	v_fmac_f32_e32 v39, v40, v39
	v_div_scale_f32 v40, vcc, v31, v37, v31
	v_mul_f32_e32 v41, v40, v39
	v_fma_f32 v42, -v32, v41, v40
	v_fmac_f32_e32 v41, v42, v39
	v_fma_f32 v32, -v32, v41, v40
	v_div_fmas_f32 v32, v32, v39, v41
	v_div_fixup_f32 v31, v32, v37, v31
	v_add_f32_e32 v31, v31, v36
	v_mul_f32_e32 v32, v24, v30
	v_div_scale_f32 v39, s[6:7], v31, v31, v32
	v_rcp_f32_e32 v40, v39
	v_cvt_f32_f16_sdwa v42, v18 dst_sel:DWORD dst_unused:UNUSED_PAD src0_sel:WORD_1
	v_cvt_f16_f32_e32 v41, v38
	v_cvt_f32_f16_sdwa v38, v19 dst_sel:DWORD dst_unused:UNUSED_PAD src0_sel:WORD_1
	v_fma_f32 v43, -v39, v40, 1.0
	v_fmac_f32_e32 v40, v43, v40
	v_div_scale_f32 v43, vcc, v32, v31, v32
	v_mul_f32_e32 v44, v43, v40
	v_fma_f32 v45, -v39, v44, v43
	v_fmac_f32_e32 v44, v45, v40
	v_cndmask_b32_e64 v45, v2, -v2, s[18:19]
	v_fma_mix_f32 v46, v35, v18, v45 op_sel_hi:[0,1,0]
	v_cndmask_b32_e64 v45, v45, v46, s[0:1]
	v_mul_f32_e32 v46, v45, v45
	v_fma_f32 v46, -v34, v46, v46
	v_fma_mix_f32 v20, v34, v20, v46 op_sel_hi:[0,1,0]
	v_mul_f32_e32 v46, 0x4f800000, v20
	v_cmp_gt_f32_e64 s[6:7], s44, v20
	v_cndmask_b32_e64 v46, v20, v46, s[6:7]
	v_sqrt_f32_e32 v47, v46
	v_fma_f32 v39, -v39, v44, v43
	v_div_fmas_f32 v39, v39, v40, v44
	v_div_fixup_f32 v31, v39, v31, v32
	v_add_u32_e32 v40, -1, v47
	v_fma_f32 v43, -v40, v47, v46
	v_cmp_ge_f32_e32 vcc, 0, v43
	v_add_u32_e32 v43, 1, v47
	v_fma_f32 v44, -v43, v47, v46
	v_cndmask_b32_e32 v40, v47, v40, vcc
	v_cmp_lt_f32_e32 vcc, 0, v44
	v_cndmask_b32_e32 v40, v40, v43, vcc
	v_mul_f32_e32 v43, 0x37800000, v40
	v_cndmask_b32_e64 v40, v40, v43, s[6:7]
	v_cmp_class_f32_e32 vcc, v46, v25
	v_cndmask_b32_e32 v40, v40, v46, vcc
	v_div_scale_f32 v43, s[6:7], v37, v37, v40
	v_rcp_f32_e32 v44, v43
	v_fma_f32 v32, -v33, v45, v45
	v_fma_mix_f32 v16, v33, v16, v32 op_sel_hi:[0,1,0]
	v_sub_f32_e32 v31, v42, v31
	v_fma_f32 v32, -v43, v44, 1.0
	v_fmac_f32_e32 v44, v32, v44
	v_div_scale_f32 v32, vcc, v40, v37, v40
	v_mul_f32_e32 v39, v32, v44
	v_fma_f32 v45, -v43, v39, v32
	v_fmac_f32_e32 v39, v45, v44
	v_fma_f32 v32, -v43, v39, v32
	v_div_fmas_f32 v32, v32, v44, v39
	v_div_fixup_f32 v32, v32, v37, v40
	v_add_f32_e32 v32, v32, v36
	v_mul_f32_e32 v39, v24, v16
	v_div_scale_f32 v40, s[6:7], v32, v32, v39
	v_rcp_f32_e32 v43, v40
	v_cvt_f32_f16_e32 v42, v18
	v_div_scale_f32 v44, vcc, v39, v32, v39
	v_fma_f32 v18, -v40, v43, 1.0
	v_fmac_f32_e32 v43, v18, v43
	v_cndmask_b32_e64 v18, v23, -v23, s[18:19]
	v_fma_mix_f32 v19, v35, v19, v18 op_sel:[0,1,0] op_sel_hi:[0,1,0]
	v_cndmask_b32_e64 v19, v18, v19, s[0:1]
	v_mul_f32_e32 v18, v19, v19
	v_fma_f32 v18, -v34, v18, v18
	v_fma_mix_f32 v18, v34, v21, v18 op_sel:[0,1,0] op_sel_hi:[0,1,0]
	v_mul_f32_e32 v21, 0x4f800000, v18
	v_cmp_gt_f32_e64 s[6:7], s44, v18
	v_cndmask_b32_e64 v21, v18, v21, s[6:7]
	v_sqrt_f32_e32 v46, v21
	v_mul_f32_e32 v45, v44, v43
	v_fma_f32 v47, -v40, v45, v44
	v_fmac_f32_e32 v45, v47, v43
	v_fma_f32 v40, -v40, v45, v44
	v_add_u32_e32 v44, -1, v46
	v_fma_f32 v47, -v44, v46, v21
	v_cmp_ge_f32_e64 s[8:9], 0, v47
	v_add_u32_e32 v47, 1, v46
	v_cndmask_b32_e64 v44, v46, v44, s[8:9]
	v_fma_f32 v46, -v47, v46, v21
	v_cmp_lt_f32_e64 s[8:9], 0, v46
	v_cndmask_b32_e64 v44, v44, v47, s[8:9]
	v_mul_f32_e32 v46, 0x37800000, v44
	v_cndmask_b32_e64 v44, v44, v46, s[6:7]
	v_cmp_class_f32_e64 s[6:7], v21, v25
	v_cndmask_b32_e64 v21, v44, v21, s[6:7]
	v_div_scale_f32 v44, s[6:7], v37, v37, v21
	v_rcp_f32_e32 v46, v44
	v_fma_f32 v19, -v33, v19, v19
	v_fma_mix_f32 v17, v33, v17, v19 op_sel:[0,1,0] op_sel_hi:[0,1,0]
	v_div_fmas_f32 v40, v40, v43, v45
	v_fma_f32 v19, -v44, v46, 1.0
	v_fmac_f32_e32 v46, v19, v46
	v_div_scale_f32 v19, vcc, v21, v37, v21
	v_mul_f32_e32 v43, v19, v46
	v_fma_f32 v45, -v44, v43, v19
	v_fmac_f32_e32 v43, v45, v46
	v_fma_f32 v19, -v44, v43, v19
	v_div_fmas_f32 v19, v19, v46, v43
	v_div_fixup_f32 v19, v19, v37, v21
	v_add_f32_e32 v19, v19, v36
	v_mul_f32_e32 v21, v24, v17
	v_div_scale_f32 v43, s[6:7], v19, v19, v21
	v_rcp_f32_e32 v44, v43
	v_div_fixup_f32 v32, v40, v32, v39
	v_sub_f32_e32 v32, v42, v32
	v_cvt_f16_f32_e32 v31, v31
	v_fma_f32 v39, -v43, v44, 1.0
	v_fmac_f32_e32 v44, v39, v44
	v_div_scale_f32 v39, vcc, v21, v19, v21
	v_mul_f32_e32 v40, v39, v44
	v_fma_f32 v42, -v43, v40, v39
	v_fmac_f32_e32 v40, v42, v44
	v_fma_f32 v39, -v43, v40, v39
	v_div_fmas_f32 v39, v39, v44, v40
	v_div_fixup_f32 v19, v39, v19, v21
	v_sub_f32_e32 v19, v38, v19
	v_cvt_f16_f32_e32 v32, v32
	v_cvt_f16_f32_e32 v19, v19
	s_and_b64 vcc, exec, s[2:3]
	v_pack_b32_f16 v38, v32, v31
	v_pack_b32_f16 v39, v41, v19
	global_store_dwordx2 v[14:15], v[38:39], off
	s_cbranch_vccnz .LBB3_9
; %bb.19:                               ;   in Loop: Header=BB3_10 Depth=1
	v_cvt_f16_f32_e32 v14, v26
	v_cvt_f16_f32_e32 v19, v22
	;; [unrolled: 1-line block ×4, first 2 shown]
	v_pack_b32_f16 v15, v14, v15
	v_pack_b32_f16 v14, v2, v19
	global_store_dwordx2 v[12:13], v[14:15], off
	s_branch .LBB3_9
.LBB3_20:
                                        ; implicit-def: $sgpr8
	v_mov_b32_e32 v1, s8
	s_branch .LBB3_2
.LBB3_21:
	s_or_b64 exec, exec, s[22:23]
	s_mov_b64 s[0:1], 0
.LBB3_22:
	s_andn2_b64 vcc, exec, s[0:1]
	s_cbranch_vccnz .LBB3_84
; %bb.23:
	v_cmp_lt_i64_e64 s[0:1], s[14:15], 1
	s_and_b64 vcc, exec, s[0:1]
	s_cbranch_vccnz .LBB3_84
; %bb.24:
	s_load_dword s0, s[4:5], 0xd64
	v_mov_b32_e32 v2, 0x10000
	v_mov_b32_e32 v3, 0
	v_cmp_lt_u64_e32 vcc, s[14:15], v[2:3]
	v_mov_b32_e32 v29, 0
	s_waitcnt lgkmcnt(0)
	s_and_b32 s4, s0, 0xffff
	v_div_scale_f32 v2, s[0:1], v5, v5, v1
	v_rcp_f32_e32 v3, v2
	s_and_b64 s[0:1], vcc, exec
	v_lshlrev_b32_e32 v28, 1, v0
	v_mad_u64_u32 v[12:13], s[2:3], s4, 6, v[28:29]
	v_fma_f32 v4, -v2, v3, 1.0
	v_fmac_f32_e32 v3, v4, v3
	v_div_scale_f32 v4, vcc, v1, v5, v1
	v_mul_f32_e32 v6, v4, v3
	v_fma_f32 v7, -v2, v6, v4
	v_fmac_f32_e32 v6, v7, v3
	v_fma_f32 v2, -v2, v6, v4
	v_div_fmas_f32 v2, v2, v3, v6
	v_mov_b32_e32 v19, s35
	v_add_co_u32_e64 v6, s[2:3], s34, v12
	v_addc_co_u32_e64 v3, s[2:3], v19, v13, s[2:3]
	v_mov_b32_e32 v23, s13
	v_add_co_u32_e64 v8, s[2:3], s12, v12
	v_div_fixup_f32 v38, v2, v5, v1
	v_addc_co_u32_e64 v5, s[2:3], v23, v13, s[2:3]
	v_mov_b32_e32 v27, s29
	v_add_co_u32_e64 v10, s[2:3], s28, v12
	v_addc_co_u32_e64 v7, s[2:3], v27, v13, s[2:3]
	v_mov_b32_e32 v31, s31
	v_add_co_u32_e64 v12, s[2:3], s30, v12
	s_cselect_b32 s23, s15, 0
	s_cselect_b32 s22, s14, 0x10000
	s_lshl_b32 s5, s4, 1
	s_mul_i32 s6, s4, 3
	v_addc_co_u32_e64 v9, s[2:3], v31, v13, s[2:3]
	s_cmp_lg_u64 s[16:17], 0
	v_add_co_u32_e64 v39, s[2:3], s6, v0
	s_cselect_b64 s[26:27], -1, 0
	s_lshl_b32 s36, s4, 2
	v_addc_co_u32_e64 v40, s[2:3], 0, 0, s[2:3]
	v_add_co_u32_e64 v17, s[2:3], s36, v28
	v_addc_co_u32_e64 v21, s[2:3], 0, 0, s[2:3]
	v_add_co_u32_e64 v14, s[2:3], s34, v17
	;; [unrolled: 2-line block ×7, first 2 shown]
	v_addc_co_u32_e64 v44, s[2:3], 0, 0, s[2:3]
	v_lshlrev_b32_e32 v29, 1, v43
	v_add_co_u32_e32 v2, vcc, s34, v28
	v_add_co_u32_e64 v22, s[2:3], s34, v29
	v_addc_co_u32_e32 v1, vcc, 0, v19, vcc
	v_addc_co_u32_e64 v19, s[2:3], 0, v19, s[2:3]
	v_add_co_u32_e64 v24, s[2:3], s12, v28
	v_addc_co_u32_e64 v21, s[2:3], 0, v23, s[2:3]
	v_add_co_u32_e64 v26, s[2:3], s12, v29
	v_addc_co_u32_e64 v23, s[2:3], 0, v23, s[2:3]
	v_add_co_u32_e32 v4, vcc, s30, v28
	v_add_co_u32_e64 v28, s[2:3], s28, v28
	v_addc_co_u32_e64 v25, s[2:3], 0, v27, s[2:3]
	v_add_co_u32_e64 v30, s[2:3], s28, v29
	v_addc_co_u32_e64 v27, s[2:3], 0, v27, s[2:3]
	v_add_co_u32_e64 v32, s[2:3], s30, v29
	s_mov_b32 s33, 0
	s_mov_b64 s[24:25], 0
	v_cmp_neq_f32_e64 s[0:1], 0, v35
	s_lshl_b32 s35, s4, 3
	s_mov_b32 s31, 0xf800000
	v_addc_co_u32_e32 v29, vcc, 0, v31, vcc
	v_addc_co_u32_e64 v31, vcc, 0, v31, s[2:3]
	v_mov_b32_e32 v45, 0x260
	s_branch .LBB3_26
.LBB3_25:                               ;   in Loop: Header=BB3_26 Depth=1
	s_or_b64 exec, exec, s[2:3]
	s_add_u32 s24, s24, s36
	s_addc_u32 s25, s25, 0
	v_pk_mov_b32 v[46:47], s[14:15], s[14:15] op_sel:[0,1]
	v_cmp_ge_i64_e32 vcc, s[24:25], v[46:47]
	v_mov_b32_e32 v46, 0xffff
	v_mov_b32_e32 v47, 0
	v_cmp_gt_u64_e64 s[2:3], s[24:25], v[46:47]
	s_or_b64 s[2:3], vcc, s[2:3]
	v_mov_b32_e32 v46, s33
	v_add_co_u32_e32 v2, vcc, s35, v2
	v_addc_co_u32_e32 v1, vcc, v1, v46, vcc
	v_add_co_u32_e32 v24, vcc, s35, v24
	v_addc_co_u32_e32 v21, vcc, v21, v46, vcc
	;; [unrolled: 2-line block ×16, first 2 shown]
	s_and_b64 vcc, exec, s[2:3]
	s_cbranch_vccnz .LBB3_84
.LBB3_26:                               ; =>This Inner Loop Header: Depth=1
	v_mov_b32_e32 v47, s25
	v_add_co_u32_e32 v46, vcc, s24, v0
	v_addc_co_u32_e32 v47, vcc, 0, v47, vcc
	v_cmp_gt_u64_e64 s[2:3], s[22:23], v[46:47]
	v_mov_b32_e32 v53, 0
	v_mov_b32_e32 v50, 0
	s_and_saveexec_b64 s[4:5], s[2:3]
	s_cbranch_execz .LBB3_28
; %bb.27:                               ;   in Loop: Header=BB3_26 Depth=1
	v_mov_b32_e32 v49, s21
	v_add_co_u32_e32 v46, vcc, s20, v24
	v_addc_co_u32_e32 v47, vcc, v21, v49, vcc
	v_add_co_u32_e32 v48, vcc, s20, v2
	v_addc_co_u32_e32 v49, vcc, v1, v49, vcc
	global_load_ushort v53, v[48:49], off
	global_load_ushort v50, v[46:47], off
.LBB3_28:                               ;   in Loop: Header=BB3_26 Depth=1
	s_or_b64 exec, exec, s[4:5]
	v_mov_b32_e32 v48, 0
	v_mov_b32_e32 v55, 0
	v_mov_b32_e32 v49, 0
	s_and_saveexec_b64 s[4:5], s[2:3]
	s_cbranch_execz .LBB3_30
; %bb.29:                               ;   in Loop: Header=BB3_26 Depth=1
	v_mov_b32_e32 v49, s21
	v_add_co_u32_e32 v46, vcc, s20, v4
	v_addc_co_u32_e32 v47, vcc, v29, v49, vcc
	v_add_co_u32_e32 v56, vcc, s20, v28
	v_addc_co_u32_e32 v57, vcc, v25, v49, vcc
	global_load_ushort v55, v[56:57], off
	global_load_ushort v49, v[46:47], off
.LBB3_30:                               ;   in Loop: Header=BB3_26 Depth=1
	s_or_b64 exec, exec, s[4:5]
	v_mov_b32_e32 v47, s25
	v_add_co_u32_e32 v46, vcc, s24, v43
	v_addc_co_u32_e32 v47, vcc, v44, v47, vcc
	v_cmp_gt_u64_e64 s[4:5], s[22:23], v[46:47]
	v_mov_b32_e32 v51, 0
	s_and_saveexec_b64 s[6:7], s[4:5]
	s_cbranch_execz .LBB3_32
; %bb.31:                               ;   in Loop: Header=BB3_26 Depth=1
	v_mov_b32_e32 v48, s21
	v_add_co_u32_e32 v46, vcc, s20, v26
	v_addc_co_u32_e32 v47, vcc, v23, v48, vcc
	v_add_co_u32_e32 v56, vcc, s20, v22
	v_addc_co_u32_e32 v57, vcc, v19, v48, vcc
	global_load_ushort v48, v[56:57], off
	global_load_ushort v51, v[46:47], off
.LBB3_32:                               ;   in Loop: Header=BB3_26 Depth=1
	s_or_b64 exec, exec, s[6:7]
	v_mov_b32_e32 v47, 0
	v_mov_b32_e32 v61, 0
	v_mov_b32_e32 v60, 0
	s_and_saveexec_b64 s[6:7], s[4:5]
	s_cbranch_execz .LBB3_34
; %bb.33:                               ;   in Loop: Header=BB3_26 Depth=1
	v_mov_b32_e32 v46, s21
	v_add_co_u32_e32 v56, vcc, s20, v32
	v_addc_co_u32_e32 v57, vcc, v31, v46, vcc
	v_add_co_u32_e32 v58, vcc, s20, v30
	v_addc_co_u32_e32 v59, vcc, v27, v46, vcc
	global_load_ushort v61, v[58:59], off
	global_load_ushort v60, v[56:57], off
.LBB3_34:                               ;   in Loop: Header=BB3_26 Depth=1
	s_or_b64 exec, exec, s[6:7]
	v_mov_b32_e32 v46, s25
	v_add_co_u32_e32 v56, vcc, s24, v41
	v_addc_co_u32_e32 v57, vcc, v42, v46, vcc
	v_cmp_gt_u64_e64 s[6:7], s[22:23], v[56:57]
	;; [unrolled: 32-line block ×3, first 2 shown]
	v_mov_b32_e32 v54, 0
	s_and_saveexec_b64 s[10:11], s[8:9]
	s_cbranch_execz .LBB3_40
; %bb.39:                               ;   in Loop: Header=BB3_26 Depth=1
	v_mov_b32_e32 v46, s21
	v_add_co_u32_e32 v56, vcc, s20, v8
	v_addc_co_u32_e32 v57, vcc, v5, v46, vcc
	v_add_co_u32_e32 v62, vcc, s20, v6
	v_addc_co_u32_e32 v63, vcc, v3, v46, vcc
	global_load_ushort v46, v[62:63], off
	global_load_ushort v54, v[56:57], off
.LBB3_40:                               ;   in Loop: Header=BB3_26 Depth=1
	s_or_b64 exec, exec, s[10:11]
	v_mov_b32_e32 v56, 0
	v_mov_b32_e32 v57, 0
	s_and_saveexec_b64 s[10:11], s[8:9]
	s_cbranch_execz .LBB3_42
; %bb.41:                               ;   in Loop: Header=BB3_26 Depth=1
	v_mov_b32_e32 v56, s21
	v_add_co_u32_e32 v62, vcc, s20, v12
	v_addc_co_u32_e32 v63, vcc, v9, v56, vcc
	v_add_co_u32_e32 v64, vcc, s20, v10
	v_addc_co_u32_e32 v65, vcc, v7, v56, vcc
	global_load_ushort v56, v[64:65], off
	global_load_ushort v57, v[62:63], off
.LBB3_42:                               ;   in Loop: Header=BB3_26 Depth=1
	s_or_b64 exec, exec, s[10:11]
	s_waitcnt vmcnt(0)
	v_cvt_f32_f16_e32 v50, v50
	v_cndmask_b32_e64 v62, 0, 1, s[26:27]
	v_cmp_ne_u32_e64 s[10:11], 1, v62
	s_andn2_b64 vcc, exec, s[26:27]
	s_cbranch_vccnz .LBB3_44
; %bb.43:                               ;   in Loop: Header=BB3_26 Depth=1
	s_load_dword s28, s[16:17], 0x0
	s_waitcnt lgkmcnt(0)
	v_div_scale_f32 v62, s[12:13], s28, s28, v50
	v_rcp_f32_e32 v63, v62
	v_div_scale_f32 v64, vcc, v50, s28, v50
	v_fma_f32 v65, -v62, v63, 1.0
	v_fmac_f32_e32 v63, v65, v63
	v_mul_f32_e32 v65, v64, v63
	v_fma_f32 v66, -v62, v65, v64
	v_fmac_f32_e32 v65, v66, v63
	v_fma_f32 v62, -v62, v65, v64
	v_div_fmas_f32 v62, v62, v63, v65
	v_div_fixup_f32 v50, v62, s28, v50
.LBB3_44:                               ;   in Loop: Header=BB3_26 Depth=1
	v_cvt_f32_f16_e32 v51, v51
	s_and_b64 vcc, exec, s[10:11]
	s_cbranch_vccnz .LBB3_46
; %bb.45:                               ;   in Loop: Header=BB3_26 Depth=1
	s_load_dword s28, s[16:17], 0x0
	s_waitcnt lgkmcnt(0)
	v_div_scale_f32 v62, s[12:13], s28, s28, v51
	v_rcp_f32_e32 v63, v62
	v_div_scale_f32 v64, vcc, v51, s28, v51
	v_fma_f32 v65, -v62, v63, 1.0
	v_fmac_f32_e32 v63, v65, v63
	v_mul_f32_e32 v65, v64, v63
	v_fma_f32 v66, -v62, v65, v64
	v_fmac_f32_e32 v65, v66, v63
	v_fma_f32 v62, -v62, v65, v64
	v_div_fmas_f32 v62, v62, v63, v65
	v_div_fixup_f32 v51, v62, s28, v51
.LBB3_46:                               ;   in Loop: Header=BB3_26 Depth=1
	v_cvt_f32_f16_e32 v52, v52
	s_and_b64 vcc, exec, s[10:11]
	;; [unrolled: 18-line block ×3, first 2 shown]
	s_cbranch_vccnz .LBB3_50
; %bb.49:                               ;   in Loop: Header=BB3_26 Depth=1
	s_load_dword s28, s[16:17], 0x0
	s_waitcnt lgkmcnt(0)
	v_div_scale_f32 v62, s[12:13], s28, s28, v54
	v_rcp_f32_e32 v63, v62
	v_div_scale_f32 v64, vcc, v54, s28, v54
	v_fma_f32 v65, -v62, v63, 1.0
	v_fmac_f32_e32 v63, v65, v63
	v_mul_f32_e32 v65, v64, v63
	v_fma_f32 v66, -v62, v65, v64
	v_fmac_f32_e32 v65, v66, v63
	v_fma_f32 v62, -v62, v65, v64
	v_div_fmas_f32 v62, v62, v63, v65
	v_div_fixup_f32 v54, v62, s28, v54
.LBB3_50:                               ;   in Loop: Header=BB3_26 Depth=1
	v_cndmask_b32_e64 v62, v50, -v50, s[18:19]
	v_fma_mix_f32 v63, v35, v53, v62 op_sel_hi:[0,1,0]
	v_cndmask_b32_e64 v62, v62, v63, s[0:1]
	v_fma_f32 v63, -v33, v62, v62
	v_mul_f32_e32 v62, v62, v62
	v_fma_f32 v62, -v34, v62, v62
	v_fma_mix_f32 v55, v33, v55, v63 op_sel_hi:[0,1,0]
	v_fma_mix_f32 v49, v34, v49, v62 op_sel_hi:[0,1,0]
	s_and_saveexec_b64 s[28:29], s[2:3]
	s_cbranch_execz .LBB3_52
; %bb.51:                               ;   in Loop: Header=BB3_26 Depth=1
	v_mul_f32_e32 v62, 0x4f800000, v49
	v_cmp_gt_f32_e32 vcc, s31, v49
	v_cndmask_b32_e32 v62, v49, v62, vcc
	v_sqrt_f32_e32 v63, v62
	v_cvt_f32_f16_e32 v53, v53
	v_add_u32_e32 v64, -1, v63
	v_fma_f32 v66, -v64, v63, v62
	v_add_u32_e32 v65, 1, v63
	v_cmp_ge_f32_e64 s[12:13], 0, v66
	v_cndmask_b32_e64 v64, v63, v64, s[12:13]
	v_fma_f32 v63, -v65, v63, v62
	v_cmp_lt_f32_e64 s[12:13], 0, v63
	v_cndmask_b32_e64 v63, v64, v65, s[12:13]
	v_mul_f32_e32 v64, 0x37800000, v63
	v_cndmask_b32_e32 v63, v63, v64, vcc
	v_cmp_class_f32_e32 vcc, v62, v45
	v_cndmask_b32_e32 v62, v63, v62, vcc
	v_div_scale_f32 v63, s[12:13], v37, v37, v62
	v_rcp_f32_e32 v64, v63
	v_fma_f32 v65, -v63, v64, 1.0
	v_fmac_f32_e32 v64, v65, v64
	v_div_scale_f32 v65, vcc, v62, v37, v62
	v_mul_f32_e32 v66, v65, v64
	v_fma_f32 v67, -v63, v66, v65
	v_fmac_f32_e32 v66, v67, v64
	v_fma_f32 v63, -v63, v66, v65
	v_div_fmas_f32 v63, v63, v64, v66
	v_div_fixup_f32 v62, v63, v37, v62
	v_add_f32_e32 v62, v62, v36
	v_mul_f32_e32 v63, v38, v55
	v_div_scale_f32 v64, s[12:13], v62, v62, v63
	v_rcp_f32_e32 v65, v64
	v_fma_f32 v66, -v64, v65, 1.0
	v_fmac_f32_e32 v65, v66, v65
	v_div_scale_f32 v66, vcc, v63, v62, v63
	v_mul_f32_e32 v67, v66, v65
	v_fma_f32 v68, -v64, v67, v66
	v_fmac_f32_e32 v67, v68, v65
	v_fma_f32 v64, -v64, v67, v66
	v_div_fmas_f32 v64, v64, v65, v67
	v_div_fixup_f32 v62, v64, v62, v63
	v_sub_f32_e32 v53, v53, v62
	v_cvt_f16_f32_e32 v53, v53
	v_mov_b32_e32 v63, s21
	v_add_co_u32_e32 v62, vcc, s20, v2
	v_addc_co_u32_e32 v63, vcc, v1, v63, vcc
	global_store_short v[62:63], v53, off
.LBB3_52:                               ;   in Loop: Header=BB3_26 Depth=1
	s_or_b64 exec, exec, s[28:29]
	v_cndmask_b32_e64 v53, v51, -v51, s[18:19]
	v_fma_mix_f32 v62, v35, v48, v53 op_sel_hi:[0,1,0]
	v_cndmask_b32_e64 v53, v53, v62, s[0:1]
	v_fma_f32 v62, -v33, v53, v53
	v_mul_f32_e32 v53, v53, v53
	v_fma_f32 v53, -v34, v53, v53
	v_fma_mix_f32 v61, v33, v61, v62 op_sel_hi:[0,1,0]
	v_fma_mix_f32 v53, v34, v60, v53 op_sel_hi:[0,1,0]
	s_and_saveexec_b64 s[28:29], s[4:5]
	s_cbranch_execz .LBB3_54
; %bb.53:                               ;   in Loop: Header=BB3_26 Depth=1
	v_mul_f32_e32 v60, 0x4f800000, v53
	v_cmp_gt_f32_e32 vcc, s31, v53
	v_cndmask_b32_e32 v60, v53, v60, vcc
	v_sqrt_f32_e32 v62, v60
	v_cvt_f32_f16_e32 v48, v48
	v_add_u32_e32 v63, -1, v62
	v_fma_f32 v65, -v63, v62, v60
	v_add_u32_e32 v64, 1, v62
	v_cmp_ge_f32_e64 s[12:13], 0, v65
	v_cndmask_b32_e64 v63, v62, v63, s[12:13]
	v_fma_f32 v62, -v64, v62, v60
	v_cmp_lt_f32_e64 s[12:13], 0, v62
	v_cndmask_b32_e64 v62, v63, v64, s[12:13]
	v_mul_f32_e32 v63, 0x37800000, v62
	v_cndmask_b32_e32 v62, v62, v63, vcc
	v_cmp_class_f32_e32 vcc, v60, v45
	v_cndmask_b32_e32 v60, v62, v60, vcc
	v_div_scale_f32 v62, s[12:13], v37, v37, v60
	v_rcp_f32_e32 v63, v62
	v_fma_f32 v64, -v62, v63, 1.0
	v_fmac_f32_e32 v63, v64, v63
	v_div_scale_f32 v64, vcc, v60, v37, v60
	v_mul_f32_e32 v65, v64, v63
	v_fma_f32 v66, -v62, v65, v64
	v_fmac_f32_e32 v65, v66, v63
	v_fma_f32 v62, -v62, v65, v64
	v_div_fmas_f32 v62, v62, v63, v65
	v_div_fixup_f32 v60, v62, v37, v60
	v_add_f32_e32 v60, v60, v36
	v_mul_f32_e32 v62, v38, v61
	v_div_scale_f32 v63, s[12:13], v60, v60, v62
	v_rcp_f32_e32 v64, v63
	v_fma_f32 v65, -v63, v64, 1.0
	v_fmac_f32_e32 v64, v65, v64
	v_div_scale_f32 v65, vcc, v62, v60, v62
	v_mul_f32_e32 v66, v65, v64
	v_fma_f32 v67, -v63, v66, v65
	v_fmac_f32_e32 v66, v67, v64
	v_fma_f32 v63, -v63, v66, v65
	v_div_fmas_f32 v63, v63, v64, v66
	v_div_fixup_f32 v60, v63, v60, v62
	v_sub_f32_e32 v48, v48, v60
	v_cvt_f16_f32_e32 v48, v48
	v_mov_b32_e32 v60, s21
	v_add_co_u32_e32 v62, vcc, s20, v22
	v_addc_co_u32_e32 v63, vcc, v19, v60, vcc
	global_store_short v[62:63], v48, off
.LBB3_54:                               ;   in Loop: Header=BB3_26 Depth=1
	s_or_b64 exec, exec, s[28:29]
	;; [unrolled: 60-line block ×4, first 2 shown]
	s_and_b64 vcc, exec, s[10:11]
	s_cbranch_vccnz .LBB3_65
; %bb.59:                               ;   in Loop: Header=BB3_26 Depth=1
	s_and_saveexec_b64 s[10:11], s[2:3]
	s_cbranch_execnz .LBB3_81
; %bb.60:                               ;   in Loop: Header=BB3_26 Depth=1
	s_or_b64 exec, exec, s[10:11]
	s_and_saveexec_b64 s[10:11], s[4:5]
	s_cbranch_execnz .LBB3_82
.LBB3_61:                               ;   in Loop: Header=BB3_26 Depth=1
	s_or_b64 exec, exec, s[10:11]
	s_and_saveexec_b64 s[10:11], s[6:7]
	s_cbranch_execnz .LBB3_83
.LBB3_62:                               ;   in Loop: Header=BB3_26 Depth=1
	s_or_b64 exec, exec, s[10:11]
	s_and_saveexec_b64 s[10:11], s[8:9]
	s_cbranch_execz .LBB3_64
.LBB3_63:                               ;   in Loop: Header=BB3_26 Depth=1
	v_cvt_f16_f32_e32 v46, v54
	v_mov_b32_e32 v51, s21
	v_add_co_u32_e32 v50, vcc, s20, v8
	v_addc_co_u32_e32 v51, vcc, v5, v51, vcc
	global_store_short v[50:51], v46, off
.LBB3_64:                               ;   in Loop: Header=BB3_26 Depth=1
	s_or_b64 exec, exec, s[10:11]
.LBB3_65:                               ;   in Loop: Header=BB3_26 Depth=1
	s_and_saveexec_b64 s[10:11], s[2:3]
	s_cbranch_execnz .LBB3_73
; %bb.66:                               ;   in Loop: Header=BB3_26 Depth=1
	s_or_b64 exec, exec, s[10:11]
	s_and_saveexec_b64 s[10:11], s[4:5]
	s_cbranch_execnz .LBB3_74
.LBB3_67:                               ;   in Loop: Header=BB3_26 Depth=1
	s_or_b64 exec, exec, s[10:11]
	s_and_saveexec_b64 s[10:11], s[6:7]
	s_cbranch_execnz .LBB3_75
.LBB3_68:                               ;   in Loop: Header=BB3_26 Depth=1
	s_or_b64 exec, exec, s[10:11]
	s_and_saveexec_b64 s[10:11], s[8:9]
	s_cbranch_execnz .LBB3_76
.LBB3_69:                               ;   in Loop: Header=BB3_26 Depth=1
	s_or_b64 exec, exec, s[10:11]
	s_and_saveexec_b64 s[10:11], s[2:3]
	s_cbranch_execnz .LBB3_77
.LBB3_70:                               ;   in Loop: Header=BB3_26 Depth=1
	s_or_b64 exec, exec, s[10:11]
	s_and_saveexec_b64 s[2:3], s[4:5]
	s_cbranch_execnz .LBB3_78
.LBB3_71:                               ;   in Loop: Header=BB3_26 Depth=1
	s_or_b64 exec, exec, s[2:3]
	s_and_saveexec_b64 s[2:3], s[6:7]
	s_cbranch_execnz .LBB3_79
.LBB3_72:                               ;   in Loop: Header=BB3_26 Depth=1
	s_or_b64 exec, exec, s[2:3]
	s_and_saveexec_b64 s[2:3], s[8:9]
	s_cbranch_execz .LBB3_25
	s_branch .LBB3_80
.LBB3_73:                               ;   in Loop: Header=BB3_26 Depth=1
	v_cvt_f16_f32_e32 v46, v55
	v_mov_b32_e32 v51, s21
	v_add_co_u32_e32 v50, vcc, s20, v28
	v_addc_co_u32_e32 v51, vcc, v25, v51, vcc
	global_store_short v[50:51], v46, off
	s_or_b64 exec, exec, s[10:11]
	s_and_saveexec_b64 s[10:11], s[4:5]
	s_cbranch_execz .LBB3_67
.LBB3_74:                               ;   in Loop: Header=BB3_26 Depth=1
	v_cvt_f16_f32_e32 v46, v61
	v_mov_b32_e32 v51, s21
	v_add_co_u32_e32 v50, vcc, s20, v30
	v_addc_co_u32_e32 v51, vcc, v27, v51, vcc
	global_store_short v[50:51], v46, off
	s_or_b64 exec, exec, s[10:11]
	s_and_saveexec_b64 s[10:11], s[6:7]
	s_cbranch_execz .LBB3_68
.LBB3_75:                               ;   in Loop: Header=BB3_26 Depth=1
	v_cvt_f16_f32_e32 v46, v59
	v_mov_b32_e32 v51, s21
	v_add_co_u32_e32 v50, vcc, s20, v18
	v_addc_co_u32_e32 v51, vcc, v15, v51, vcc
	global_store_short v[50:51], v46, off
	s_or_b64 exec, exec, s[10:11]
	s_and_saveexec_b64 s[10:11], s[8:9]
	s_cbranch_execz .LBB3_69
.LBB3_76:                               ;   in Loop: Header=BB3_26 Depth=1
	v_cvt_f16_f32_e32 v46, v56
	v_mov_b32_e32 v51, s21
	v_add_co_u32_e32 v50, vcc, s20, v10
	v_addc_co_u32_e32 v51, vcc, v7, v51, vcc
	global_store_short v[50:51], v46, off
	s_or_b64 exec, exec, s[10:11]
	s_and_saveexec_b64 s[10:11], s[2:3]
	s_cbranch_execz .LBB3_70
.LBB3_77:                               ;   in Loop: Header=BB3_26 Depth=1
	v_cvt_f16_f32_e32 v46, v49
	v_mov_b32_e32 v49, s21
	v_add_co_u32_e32 v50, vcc, s20, v4
	v_addc_co_u32_e32 v51, vcc, v29, v49, vcc
	global_store_short v[50:51], v46, off
	s_or_b64 exec, exec, s[10:11]
	s_and_saveexec_b64 s[2:3], s[4:5]
	s_cbranch_execz .LBB3_71
.LBB3_78:                               ;   in Loop: Header=BB3_26 Depth=1
	v_cvt_f16_f32_e32 v46, v53
	v_mov_b32_e32 v49, s21
	v_add_co_u32_e32 v50, vcc, s20, v32
	v_addc_co_u32_e32 v51, vcc, v31, v49, vcc
	global_store_short v[50:51], v46, off
	s_or_b64 exec, exec, s[2:3]
	s_and_saveexec_b64 s[2:3], s[6:7]
	s_cbranch_execz .LBB3_72
.LBB3_79:                               ;   in Loop: Header=BB3_26 Depth=1
	v_cvt_f16_f32_e32 v46, v48
	v_mov_b32_e32 v49, s21
	v_add_co_u32_e32 v48, vcc, s20, v20
	v_addc_co_u32_e32 v49, vcc, v17, v49, vcc
	global_store_short v[48:49], v46, off
	s_or_b64 exec, exec, s[2:3]
	s_and_saveexec_b64 s[2:3], s[8:9]
	s_cbranch_execz .LBB3_25
.LBB3_80:                               ;   in Loop: Header=BB3_26 Depth=1
	v_cvt_f16_f32_e32 v48, v47
	v_mov_b32_e32 v47, s21
	v_add_co_u32_e32 v46, vcc, s20, v12
	v_addc_co_u32_e32 v47, vcc, v9, v47, vcc
	global_store_short v[46:47], v48, off
	s_branch .LBB3_25
.LBB3_81:                               ;   in Loop: Header=BB3_26 Depth=1
	v_cvt_f16_f32_e32 v46, v50
	v_mov_b32_e32 v50, s21
	v_add_co_u32_e32 v62, vcc, s20, v24
	v_addc_co_u32_e32 v63, vcc, v21, v50, vcc
	global_store_short v[62:63], v46, off
	s_or_b64 exec, exec, s[10:11]
	s_and_saveexec_b64 s[10:11], s[4:5]
	s_cbranch_execz .LBB3_61
.LBB3_82:                               ;   in Loop: Header=BB3_26 Depth=1
	v_cvt_f16_f32_e32 v46, v51
	v_mov_b32_e32 v51, s21
	v_add_co_u32_e32 v50, vcc, s20, v26
	v_addc_co_u32_e32 v51, vcc, v23, v51, vcc
	global_store_short v[50:51], v46, off
	s_or_b64 exec, exec, s[10:11]
	s_and_saveexec_b64 s[10:11], s[6:7]
	s_cbranch_execz .LBB3_62
.LBB3_83:                               ;   in Loop: Header=BB3_26 Depth=1
	v_cvt_f16_f32_e32 v46, v52
	v_mov_b32_e32 v51, s21
	v_add_co_u32_e32 v50, vcc, s20, v16
	v_addc_co_u32_e32 v51, vcc, v13, v51, vcc
	global_store_short v[50:51], v46, off
	s_or_b64 exec, exec, s[10:11]
	s_and_saveexec_b64 s[10:11], s[8:9]
	s_cbranch_execnz .LBB3_63
	s_branch .LBB3_64
.LBB3_84:
	s_endpgm
	.section	.rodata,"a",@progbits
	.p2align	6, 0x0
	.amdhsa_kernel _ZN2at6native12_GLOBAL__N_125multi_tensor_apply_kernelINS1_32FusedOptimizerTensorListMetadataILi4EEENS1_20FusedAdamMathFunctorIN3c104HalfELi4ELNS0_9ADAM_MODEE0ELb0EEEJPKfdddddbSB_SB_EEEvT_T0_DpT1_
		.amdhsa_group_segment_fixed_size 0
		.amdhsa_private_segment_fixed_size 0
		.amdhsa_kernarg_size 3672
		.amdhsa_user_sgpr_count 6
		.amdhsa_user_sgpr_private_segment_buffer 1
		.amdhsa_user_sgpr_dispatch_ptr 0
		.amdhsa_user_sgpr_queue_ptr 0
		.amdhsa_user_sgpr_kernarg_segment_ptr 1
		.amdhsa_user_sgpr_dispatch_id 0
		.amdhsa_user_sgpr_flat_scratch_init 0
		.amdhsa_user_sgpr_kernarg_preload_length 0
		.amdhsa_user_sgpr_kernarg_preload_offset 0
		.amdhsa_user_sgpr_private_segment_size 0
		.amdhsa_uses_dynamic_stack 0
		.amdhsa_system_sgpr_private_segment_wavefront_offset 0
		.amdhsa_system_sgpr_workgroup_id_x 1
		.amdhsa_system_sgpr_workgroup_id_y 0
		.amdhsa_system_sgpr_workgroup_id_z 0
		.amdhsa_system_sgpr_workgroup_info 0
		.amdhsa_system_vgpr_workitem_id 0
		.amdhsa_next_free_vgpr 69
		.amdhsa_next_free_sgpr 45
		.amdhsa_accum_offset 72
		.amdhsa_reserve_vcc 1
		.amdhsa_reserve_flat_scratch 0
		.amdhsa_float_round_mode_32 0
		.amdhsa_float_round_mode_16_64 0
		.amdhsa_float_denorm_mode_32 3
		.amdhsa_float_denorm_mode_16_64 3
		.amdhsa_dx10_clamp 1
		.amdhsa_ieee_mode 1
		.amdhsa_fp16_overflow 0
		.amdhsa_tg_split 0
		.amdhsa_exception_fp_ieee_invalid_op 0
		.amdhsa_exception_fp_denorm_src 0
		.amdhsa_exception_fp_ieee_div_zero 0
		.amdhsa_exception_fp_ieee_overflow 0
		.amdhsa_exception_fp_ieee_underflow 0
		.amdhsa_exception_fp_ieee_inexact 0
		.amdhsa_exception_int_div_zero 0
	.end_amdhsa_kernel
	.section	.text._ZN2at6native12_GLOBAL__N_125multi_tensor_apply_kernelINS1_32FusedOptimizerTensorListMetadataILi4EEENS1_20FusedAdamMathFunctorIN3c104HalfELi4ELNS0_9ADAM_MODEE0ELb0EEEJPKfdddddbSB_SB_EEEvT_T0_DpT1_,"axG",@progbits,_ZN2at6native12_GLOBAL__N_125multi_tensor_apply_kernelINS1_32FusedOptimizerTensorListMetadataILi4EEENS1_20FusedAdamMathFunctorIN3c104HalfELi4ELNS0_9ADAM_MODEE0ELb0EEEJPKfdddddbSB_SB_EEEvT_T0_DpT1_,comdat
.Lfunc_end3:
	.size	_ZN2at6native12_GLOBAL__N_125multi_tensor_apply_kernelINS1_32FusedOptimizerTensorListMetadataILi4EEENS1_20FusedAdamMathFunctorIN3c104HalfELi4ELNS0_9ADAM_MODEE0ELb0EEEJPKfdddddbSB_SB_EEEvT_T0_DpT1_, .Lfunc_end3-_ZN2at6native12_GLOBAL__N_125multi_tensor_apply_kernelINS1_32FusedOptimizerTensorListMetadataILi4EEENS1_20FusedAdamMathFunctorIN3c104HalfELi4ELNS0_9ADAM_MODEE0ELb0EEEJPKfdddddbSB_SB_EEEvT_T0_DpT1_
                                        ; -- End function
	.section	.AMDGPU.csdata,"",@progbits
; Kernel info:
; codeLenInByte = 8564
; NumSgprs: 49
; NumVgprs: 69
; NumAgprs: 0
; TotalNumVgprs: 69
; ScratchSize: 0
; MemoryBound: 0
; FloatMode: 240
; IeeeMode: 1
; LDSByteSize: 0 bytes/workgroup (compile time only)
; SGPRBlocks: 6
; VGPRBlocks: 8
; NumSGPRsForWavesPerEU: 49
; NumVGPRsForWavesPerEU: 69
; AccumOffset: 72
; Occupancy: 7
; WaveLimiterHint : 0
; COMPUTE_PGM_RSRC2:SCRATCH_EN: 0
; COMPUTE_PGM_RSRC2:USER_SGPR: 6
; COMPUTE_PGM_RSRC2:TRAP_HANDLER: 0
; COMPUTE_PGM_RSRC2:TGID_X_EN: 1
; COMPUTE_PGM_RSRC2:TGID_Y_EN: 0
; COMPUTE_PGM_RSRC2:TGID_Z_EN: 0
; COMPUTE_PGM_RSRC2:TIDIG_COMP_CNT: 0
; COMPUTE_PGM_RSRC3_GFX90A:ACCUM_OFFSET: 17
; COMPUTE_PGM_RSRC3_GFX90A:TG_SPLIT: 0
	.section	.text._ZN2at6native12_GLOBAL__N_125multi_tensor_apply_kernelINS1_32FusedOptimizerTensorListMetadataILi4EEENS1_20FusedAdamMathFunctorIN3c108BFloat16ELi4ELNS0_9ADAM_MODEE0ELb0EEEJPKfdddddbSB_SB_EEEvT_T0_DpT1_,"axG",@progbits,_ZN2at6native12_GLOBAL__N_125multi_tensor_apply_kernelINS1_32FusedOptimizerTensorListMetadataILi4EEENS1_20FusedAdamMathFunctorIN3c108BFloat16ELi4ELNS0_9ADAM_MODEE0ELb0EEEJPKfdddddbSB_SB_EEEvT_T0_DpT1_,comdat
	.globl	_ZN2at6native12_GLOBAL__N_125multi_tensor_apply_kernelINS1_32FusedOptimizerTensorListMetadataILi4EEENS1_20FusedAdamMathFunctorIN3c108BFloat16ELi4ELNS0_9ADAM_MODEE0ELb0EEEJPKfdddddbSB_SB_EEEvT_T0_DpT1_ ; -- Begin function _ZN2at6native12_GLOBAL__N_125multi_tensor_apply_kernelINS1_32FusedOptimizerTensorListMetadataILi4EEENS1_20FusedAdamMathFunctorIN3c108BFloat16ELi4ELNS0_9ADAM_MODEE0ELb0EEEJPKfdddddbSB_SB_EEEvT_T0_DpT1_
	.p2align	8
	.type	_ZN2at6native12_GLOBAL__N_125multi_tensor_apply_kernelINS1_32FusedOptimizerTensorListMetadataILi4EEENS1_20FusedAdamMathFunctorIN3c108BFloat16ELi4ELNS0_9ADAM_MODEE0ELb0EEEJPKfdddddbSB_SB_EEEvT_T0_DpT1_,@function
_ZN2at6native12_GLOBAL__N_125multi_tensor_apply_kernelINS1_32FusedOptimizerTensorListMetadataILi4EEENS1_20FusedAdamMathFunctorIN3c108BFloat16ELi4ELNS0_9ADAM_MODEE0ELb0EEEJPKfdddddbSB_SB_EEEvT_T0_DpT1_: ; @_ZN2at6native12_GLOBAL__N_125multi_tensor_apply_kernelINS1_32FusedOptimizerTensorListMetadataILi4EEENS1_20FusedAdamMathFunctorIN3c108BFloat16ELi4ELNS0_9ADAM_MODEE0ELb0EEEJPKfdddddbSB_SB_EEEvT_T0_DpT1_
; %bb.0:
	v_mov_b32_e32 v1, s6
	global_load_ubyte v1, v1, s[4:5] offset:1728
	s_load_dwordx4 s[0:3], s[4:5], 0xd30
	s_load_dwordx8 s[8:15], s[4:5], 0xd10
	s_add_u32 s7, s4, s6
	s_mul_hi_u32 s16, s6, 3
	s_mul_i32 s6, s6, 3
	s_addc_u32 s17, s5, 0
	s_add_u32 s20, s7, s6
	s_addc_u32 s21, s17, s16
	s_waitcnt lgkmcnt(0)
	s_cmp_eq_u64 s[8:9], 0
	s_mov_b64 s[6:7], 0
	s_waitcnt vmcnt(0)
	v_readfirstlane_b32 s22, v1
	s_cbranch_scc1 .LBB4_28
; %bb.1:
	s_load_dword s8, s[8:9], 0x0
	s_andn2_b64 vcc, exec, s[6:7]
	s_waitcnt lgkmcnt(0)
	v_mov_b32_e32 v5, s8
	s_cbranch_vccnz .LBB4_3
.LBB4_2:
	v_cvt_f32_f64_e32 v5, s[10:11]
.LBB4_3:
	s_load_dwordx4 s[16:19], s[4:5], 0xd48
	s_waitcnt lgkmcnt(0)
	s_cmp_eq_u64 s[18:19], 0
	s_cselect_b64 s[6:7], -1, 0
	s_and_b64 vcc, exec, s[6:7]
	s_cbranch_vccnz .LBB4_5
; %bb.4:
	s_load_dword s6, s[18:19], 0x0
	s_waitcnt lgkmcnt(0)
	v_cmp_neq_f32_e64 s[6:7], s6, 1.0
.LBB4_5:
	s_andn2_b64 vcc, exec, s[6:7]
	s_cbranch_vccnz .LBB4_101
; %bb.6:
	s_load_dword s6, s[4:5], 0xd40
	v_cvt_f32_f64_e32 v42, s[12:13]
	v_cmp_eq_f32_e32 vcc, 1.0, v42
	v_cvt_f32_f64_e32 v44, s[0:1]
	v_cvt_f32_f64_e32 v43, s[14:15]
	s_waitcnt lgkmcnt(0)
	s_bitcmp1_b32 s6, 0
	s_cselect_b64 s[18:19], -1, 0
	s_and_b32 s6, s22, 0xff
	s_lshl_b32 s8, s6, 3
	s_load_dwordx2 s[6:7], s[4:5], s8 offset:0x5a0
	s_load_dword s10, s[20:21], 0x800
	s_mov_b32 s14, 0x3f2aaaab
	v_cvt_f32_f64_e32 v45, s[2:3]
	s_load_dwordx2 s[22:23], s[4:5], s8 offset:0x480
	s_waitcnt lgkmcnt(0)
	s_load_dword s11, s[6:7], 0x0
	v_mov_b32_e32 v24, 0x3ecccdef
	s_mov_b32 s20, 0x3f317218
	s_movk_i32 s12, 0x204
	s_mov_b32 s13, 0x42b17218
	s_waitcnt lgkmcnt(0)
	v_mov_b32_e32 v20, s11
	v_cndmask_b32_e64 v21, v20, 1.0, vcc
	v_cmp_eq_f32_e64 s[0:1], 0, v21
	v_cndmask_b32_e64 v22, |v42|, 1.0, s[0:1]
	v_frexp_mant_f32_e32 v1, v22
	v_cmp_gt_f32_e64 s[2:3], s14, v1
	v_cndmask_b32_e64 v2, 1.0, 2.0, s[2:3]
	v_mul_f32_e32 v1, v1, v2
	v_add_f32_e32 v2, 1.0, v1
	v_rcp_f32_e32 v4, v2
	v_add_f32_e32 v3, -1.0, v1
	v_add_f32_e32 v6, -1.0, v2
	v_sub_f32_e32 v1, v1, v6
	v_mul_f32_e32 v12, v3, v4
	v_mul_f32_e32 v6, v2, v12
	v_fma_f32 v8, v12, v2, -v6
	v_fmac_f32_e32 v8, v12, v1
	v_add_f32_e32 v2, v6, v8
	v_sub_f32_e32 v7, v3, v2
	v_pk_add_f32 v[10:11], v[2:3], v[6:7] neg_lo:[0,1] neg_hi:[0,1]
	v_mov_b32_e32 v9, v2
	v_pk_add_f32 v[2:3], v[10:11], v[8:9] neg_lo:[0,1] neg_hi:[0,1]
	v_add_f32_e32 v1, v2, v3
	v_add_f32_e32 v1, v7, v1
	v_mul_f32_e32 v1, v4, v1
	v_add_f32_e32 v2, v12, v1
	v_sub_f32_e32 v3, v2, v12
	v_sub_f32_e32 v1, v1, v3
	v_mul_f32_e32 v3, v2, v2
	v_fma_f32 v4, v2, v2, -v3
	v_add_f32_e32 v6, v1, v1
	v_fmac_f32_e32 v4, v2, v6
	v_add_f32_e32 v6, v3, v4
	v_mov_b32_e32 v7, 0x3e91f4c4
	v_fmac_f32_e32 v7, 0x3e76c4e1, v6
	v_fma_f32 v7, v6, v7, v24
	v_sub_f32_e32 v3, v6, v3
	v_sub_f32_e32 v4, v4, v3
	v_mul_f32_e32 v3, v6, v7
	v_fma_f32 v8, v6, v7, -v3
	v_fmac_f32_e32 v8, v4, v7
	v_add_f32_e32 v7, v3, v8
	v_add_f32_e32 v9, 0x3f2aaaaa, v7
	v_sub_f32_e32 v3, v7, v3
	v_sub_f32_e32 v3, v8, v3
	v_add_f32_e32 v8, 0xbf2aaaaa, v9
	v_add_f32_e32 v3, 0x31739010, v3
	v_sub_f32_e32 v7, v7, v8
	v_pk_mul_f32 v[10:11], v[2:3], v[6:7]
	v_fma_f32 v8, v6, v2, -v10
	v_pk_add_f32 v[12:13], v[2:3], v[6:7]
	v_fmac_f32_e32 v8, v6, v1
	v_mov_b32_e32 v11, v13
	v_fmac_f32_e32 v8, v4, v2
	v_pk_add_f32 v[6:7], v[10:11], v[8:9]
	v_sub_f32_e32 v4, v9, v7
	v_sub_f32_e32 v3, v6, v10
	v_add_f32_e32 v11, v13, v4
	v_mov_b32_e32 v4, v7
	v_cvt_f64_f32_e32 v[12:13], v22
	v_sub_f32_e32 v3, v8, v3
	v_pk_mul_f32 v[8:9], v[6:7], v[4:5]
	v_frexp_exp_i32_f64_e32 v4, v[12:13]
	v_subbrev_co_u32_e64 v4, s[2:3], 0, v4, s[2:3]
	v_cvt_f32_i32_e32 v4, v4
	v_fma_f32 v10, v6, v7, -v8
	v_fmac_f32_e32 v10, v6, v11
	v_fmac_f32_e32 v10, v3, v7
	v_mul_f32_e32 v6, 0x3f317218, v4
	v_fma_f32 v12, v4, s20, -v6
	v_fmac_f32_e32 v12, 0xb102e308, v4
	v_ldexp_f32 v13, v2, 1
	v_add_f32_e32 v7, v8, v10
	v_pk_add_f32 v[2:3], v[6:7], v[12:13]
	v_mov_b32_e32 v14, v7
	v_mov_b32_e32 v15, v3
	;; [unrolled: 1-line block ×3, first 2 shown]
	v_pk_add_f32 v[8:9], v[14:15], v[8:9] neg_lo:[0,1] neg_hi:[0,1]
	v_mov_b32_e32 v11, v7
	v_ldexp_f32 v1, v1, 1
	v_pk_add_f32 v[8:9], v[10:11], v[8:9] neg_lo:[0,1] neg_hi:[0,1]
	v_add_f32_e32 v1, v1, v8
	v_add_f32_e32 v7, v1, v9
	v_pk_add_f32 v[8:9], v[2:3], v[6:7] neg_lo:[0,1] neg_hi:[0,1]
	v_pk_add_f32 v[10:11], v[2:3], v[6:7]
	v_mov_b32_e32 v14, v8
	v_mov_b32_e32 v15, v11
	;; [unrolled: 1-line block ×3, first 2 shown]
	v_pk_add_f32 v[14:15], v[12:13], v[14:15]
	v_mov_b32_e32 v4, v15
	v_pk_add_f32 v[16:17], v[4:5], v[2:3] neg_lo:[0,1] neg_hi:[0,1]
	v_mov_b32_e32 v1, v16
	v_mov_b32_e32 v14, v11
	;; [unrolled: 1-line block ×4, first 2 shown]
	v_pk_add_f32 v[8:9], v[12:13], v[8:9] neg_lo:[0,1] neg_hi:[0,1]
	v_pk_add_f32 v[18:19], v[10:11], v[0:1] neg_lo:[0,1] neg_hi:[0,1]
	;; [unrolled: 1-line block ×3, first 2 shown]
	v_mov_b32_e32 v12, v7
	v_pk_add_f32 v[2:3], v[12:13], v[2:3] neg_lo:[0,1] neg_hi:[0,1]
	v_mov_b32_e32 v18, v8
	v_pk_add_f32 v[6:7], v[18:19], v[2:3]
	v_mov_b32_e32 v10, v7
	v_pk_add_f32 v[10:11], v[6:7], v[10:11]
	v_pk_add_f32 v[12:13], v[4:5], v[10:11]
	v_mov_b32_e32 v9, v15
	v_mov_b32_e32 v7, v12
	v_pk_add_f32 v[14:15], v[6:7], v[8:9] neg_lo:[0,1] neg_hi:[0,1]
	v_mov_b32_e32 v3, v10
	v_sub_f32_e32 v1, v6, v14
	v_pk_add_f32 v[2:3], v[2:3], v[14:15] neg_lo:[0,1] neg_hi:[0,1]
	v_sub_f32_e32 v1, v8, v1
	v_add_f32_e32 v1, v2, v1
	v_add_f32_e32 v1, v1, v3
	;; [unrolled: 1-line block ×3, first 2 shown]
	v_sub_f32_e32 v3, v2, v12
	v_sub_f32_e32 v1, v1, v3
	v_mul_f32_e32 v3, v21, v2
	v_fma_f32 v2, v21, v2, -v3
	v_fmac_f32_e32 v2, v21, v1
	v_add_f32_e32 v1, v3, v2
	v_cmp_class_f32_e64 s[2:3], v3, s12
	v_sub_f32_e32 v4, v1, v3
	v_cndmask_b32_e64 v1, v1, v3, s[2:3]
	v_mov_b32_e32 v25, 0x37000000
	v_cmp_eq_f32_e64 s[2:3], s13, v1
	v_cndmask_b32_e64 v3, 0, v25, s[2:3]
	v_sub_f32_e32 v2, v2, v4
	v_sub_f32_e32 v4, v1, v3
	s_mov_b32 s21, 0x3fb8aa3b
	v_mul_f32_e32 v6, 0x3fb8aa3b, v4
	v_fma_f32 v7, v4, s21, -v6
	v_rndne_f32_e32 v8, v6
	v_fmac_f32_e32 v7, 0x32a5705f, v4
	v_sub_f32_e32 v6, v6, v8
	v_add_f32_e32 v6, v6, v7
	v_exp_f32_e32 v6, v6
	v_cvt_i32_f32_e32 v7, v8
	s_mov_b32 s11, 0x7f800000
	v_cmp_neq_f32_e64 s[2:3], |v1|, s11
	s_mov_b32 s24, 0xc2ce8ed0
	v_cndmask_b32_e64 v1, 0, v2, s[2:3]
	v_ldexp_f32 v2, v6, v7
	v_cmp_ngt_f32_e64 s[2:3], s24, v4
	v_cndmask_b32_e64 v2, 0, v2, s[2:3]
	v_mov_b32_e32 v26, 0x7f800000
	v_cmp_nlt_f32_e64 s[2:3], s13, v4
	v_add_f32_e32 v1, v3, v1
	v_cndmask_b32_e64 v2, v26, v2, s[2:3]
	v_fma_f32 v1, v2, v1, v2
	v_cmp_class_f32_e64 s[2:3], v2, s12
	v_cndmask_b32_e64 v1, v1, v2, s[2:3]
	v_trunc_f32_e32 v2, v21
	v_cndmask_b32_e64 v27, v42, 1.0, s[0:1]
	v_cmp_eq_f32_e64 s[0:1], v2, v21
	v_mul_f32_e32 v2, 0.5, v21
	v_trunc_f32_e32 v3, v2
	v_cmp_neq_f32_e64 s[2:3], v3, v2
	s_and_b64 s[2:3], s[0:1], s[2:3]
	v_cndmask_b32_e64 v2, 1.0, v27, s[2:3]
	s_brev_b32 s15, -2
	v_mov_b32_e32 v28, 0x7fc00000
	v_bfi_b32 v1, s15, v1, v2
	v_cndmask_b32_e64 v2, v28, v1, s[0:1]
	v_cmp_gt_f32_e64 s[0:1], 0, v27
	v_cndmask_b32_e64 v1, v1, v2, s[0:1]
	v_cndmask_b32_e64 v2, |v20|, 1.0, vcc
	v_cmp_neq_f32_e32 vcc, v21, v2
	v_cmp_gt_f32_e64 s[0:1], 1.0, v22
	s_xor_b64 s[0:1], vcc, s[0:1]
	v_cndmask_b32_e64 v3, v2, 0, s[0:1]
	v_cmp_eq_f32_e32 vcc, 1.0, v22
	v_cmp_eq_f32_e64 s[0:1], 0, v27
	v_cmp_gt_f32_e64 s[6:7], 0, v21
	v_cndmask_b32_e32 v3, v3, v22, vcc
	v_cmp_eq_f32_e32 vcc, s11, v2
	s_xor_b64 s[6:7], s[6:7], s[0:1]
	v_cndmask_b32_e32 v1, v1, v3, vcc
	v_cmp_eq_f32_e32 vcc, s11, v22
	v_cndmask_b32_e64 v2, v26, 0, s[6:7]
	v_cndmask_b32_e64 v3, 0, v27, s[2:3]
	v_bfi_b32 v2, s15, v2, v3
	s_or_b64 vcc, vcc, s[0:1]
	v_cndmask_b32_e32 v22, v1, v2, vcc
	v_cmp_eq_f32_e32 vcc, 1.0, v43
	v_cndmask_b32_e64 v29, v20, 1.0, vcc
	v_cmp_eq_f32_e64 s[0:1], 0, v29
	v_cndmask_b32_e64 v30, |v43|, 1.0, s[0:1]
	v_frexp_mant_f32_e32 v1, v30
	v_cmp_gt_f32_e64 s[2:3], s14, v1
	v_cndmask_b32_e64 v2, 1.0, 2.0, s[2:3]
	v_mul_f32_e32 v1, v1, v2
	v_add_f32_e32 v2, 1.0, v1
	v_rcp_f32_e32 v4, v2
	v_add_f32_e32 v3, -1.0, v2
	v_sub_f32_e32 v7, v1, v3
	v_add_f32_e32 v3, -1.0, v1
	v_mul_f32_e32 v1, v3, v4
	v_mul_f32_e32 v6, v2, v1
	v_fma_f32 v8, v1, v2, -v6
	v_fmac_f32_e32 v8, v1, v7
	v_add_f32_e32 v2, v6, v8
	v_sub_f32_e32 v7, v3, v2
	v_pk_add_f32 v[10:11], v[2:3], v[6:7] neg_lo:[0,1] neg_hi:[0,1]
	v_mov_b32_e32 v9, v2
	v_pk_add_f32 v[2:3], v[10:11], v[8:9] neg_lo:[0,1] neg_hi:[0,1]
	v_add_f32_e32 v2, v2, v3
	v_add_f32_e32 v2, v7, v2
	v_mul_f32_e32 v3, v4, v2
	v_add_f32_e32 v2, v1, v3
	v_sub_f32_e32 v1, v2, v1
	v_sub_f32_e32 v1, v3, v1
	v_mul_f32_e32 v3, v2, v2
	v_fma_f32 v4, v2, v2, -v3
	v_add_f32_e32 v6, v1, v1
	v_fmac_f32_e32 v4, v2, v6
	v_mov_b32_e32 v23, 0x3e91f4c4
	v_add_f32_e32 v6, v3, v4
	v_fmac_f32_e32 v23, 0x3e76c4e1, v6
	v_fmac_f32_e32 v24, v6, v23
	v_sub_f32_e32 v3, v6, v3
	v_sub_f32_e32 v4, v4, v3
	v_mul_f32_e32 v3, v6, v24
	v_fma_f32 v7, v6, v24, -v3
	v_fmac_f32_e32 v7, v4, v24
	v_add_f32_e32 v8, v3, v7
	v_add_f32_e32 v9, 0x3f2aaaaa, v8
	v_sub_f32_e32 v3, v8, v3
	v_sub_f32_e32 v3, v7, v3
	v_add_f32_e32 v7, 0xbf2aaaaa, v9
	v_add_f32_e32 v3, 0x31739010, v3
	v_sub_f32_e32 v7, v8, v7
	v_pk_mul_f32 v[10:11], v[2:3], v[6:7]
	v_fma_f32 v8, v6, v2, -v10
	v_pk_add_f32 v[12:13], v[2:3], v[6:7]
	v_fmac_f32_e32 v8, v6, v1
	v_mov_b32_e32 v11, v13
	v_fmac_f32_e32 v8, v4, v2
	v_pk_add_f32 v[6:7], v[10:11], v[8:9]
	v_sub_f32_e32 v4, v9, v7
	v_sub_f32_e32 v3, v6, v10
	v_add_f32_e32 v12, v13, v4
	v_mov_b32_e32 v4, v7
	v_cvt_f64_f32_e32 v[10:11], v30
	v_sub_f32_e32 v3, v8, v3
	v_pk_mul_f32 v[8:9], v[6:7], v[4:5]
	v_frexp_exp_i32_f64_e32 v4, v[10:11]
	v_subbrev_co_u32_e64 v4, s[2:3], 0, v4, s[2:3]
	v_cvt_f32_i32_e32 v4, v4
	v_fma_f32 v10, v6, v7, -v8
	v_fmac_f32_e32 v10, v6, v12
	v_fmac_f32_e32 v10, v3, v7
	v_mul_f32_e32 v6, 0x3f317218, v4
	v_fma_f32 v12, v4, s20, -v6
	v_fmac_f32_e32 v12, 0xb102e308, v4
	v_ldexp_f32 v13, v2, 1
	v_add_f32_e32 v7, v8, v10
	v_pk_add_f32 v[2:3], v[6:7], v[12:13]
	v_mov_b32_e32 v14, v7
	v_mov_b32_e32 v15, v3
	;; [unrolled: 1-line block ×3, first 2 shown]
	v_pk_add_f32 v[8:9], v[14:15], v[8:9] neg_lo:[0,1] neg_hi:[0,1]
	v_mov_b32_e32 v11, v7
	v_ldexp_f32 v1, v1, 1
	v_pk_add_f32 v[8:9], v[10:11], v[8:9] neg_lo:[0,1] neg_hi:[0,1]
	v_add_f32_e32 v1, v1, v8
	v_add_f32_e32 v7, v1, v9
	v_pk_add_f32 v[8:9], v[2:3], v[6:7] neg_lo:[0,1] neg_hi:[0,1]
	v_pk_add_f32 v[10:11], v[2:3], v[6:7]
	v_mov_b32_e32 v14, v8
	v_mov_b32_e32 v15, v11
	;; [unrolled: 1-line block ×3, first 2 shown]
	v_pk_add_f32 v[14:15], v[12:13], v[14:15]
	v_mov_b32_e32 v4, v15
	v_pk_add_f32 v[16:17], v[4:5], v[2:3] neg_lo:[0,1] neg_hi:[0,1]
	v_mov_b32_e32 v1, v16
	v_mov_b32_e32 v14, v11
	;; [unrolled: 1-line block ×4, first 2 shown]
	v_pk_add_f32 v[8:9], v[12:13], v[8:9] neg_lo:[0,1] neg_hi:[0,1]
	v_pk_add_f32 v[18:19], v[10:11], v[0:1] neg_lo:[0,1] neg_hi:[0,1]
	;; [unrolled: 1-line block ×3, first 2 shown]
	v_mov_b32_e32 v12, v7
	v_pk_add_f32 v[2:3], v[12:13], v[2:3] neg_lo:[0,1] neg_hi:[0,1]
	v_mov_b32_e32 v18, v8
	v_pk_add_f32 v[6:7], v[18:19], v[2:3]
	v_mov_b32_e32 v10, v7
	v_pk_add_f32 v[10:11], v[6:7], v[10:11]
	v_pk_add_f32 v[12:13], v[4:5], v[10:11]
	v_mov_b32_e32 v9, v15
	v_mov_b32_e32 v7, v12
	v_pk_add_f32 v[14:15], v[6:7], v[8:9] neg_lo:[0,1] neg_hi:[0,1]
	v_mov_b32_e32 v3, v10
	v_sub_f32_e32 v1, v6, v14
	v_pk_add_f32 v[2:3], v[2:3], v[14:15] neg_lo:[0,1] neg_hi:[0,1]
	v_sub_f32_e32 v1, v8, v1
	v_add_f32_e32 v1, v2, v1
	v_add_f32_e32 v1, v1, v3
	;; [unrolled: 1-line block ×3, first 2 shown]
	v_sub_f32_e32 v3, v2, v12
	v_sub_f32_e32 v1, v1, v3
	v_mul_f32_e32 v3, v29, v2
	v_fma_f32 v2, v29, v2, -v3
	v_fmac_f32_e32 v2, v29, v1
	v_add_f32_e32 v1, v3, v2
	v_cmp_class_f32_e64 s[2:3], v3, s12
	v_sub_f32_e32 v4, v1, v3
	v_cndmask_b32_e64 v1, v1, v3, s[2:3]
	v_cmp_eq_f32_e64 s[2:3], s13, v1
	v_cndmask_b32_e64 v3, 0, v25, s[2:3]
	v_sub_f32_e32 v2, v2, v4
	v_sub_f32_e32 v4, v1, v3
	v_mul_f32_e32 v6, 0x3fb8aa3b, v4
	v_fma_f32 v7, v4, s21, -v6
	v_rndne_f32_e32 v8, v6
	v_fmac_f32_e32 v7, 0x32a5705f, v4
	v_sub_f32_e32 v6, v6, v8
	v_add_f32_e32 v6, v6, v7
	v_exp_f32_e32 v6, v6
	v_cvt_i32_f32_e32 v7, v8
	v_cmp_neq_f32_e64 s[2:3], |v1|, s11
	v_cndmask_b32_e64 v1, 0, v2, s[2:3]
	v_cmp_ngt_f32_e64 s[2:3], s24, v4
	v_ldexp_f32 v2, v6, v7
	v_cndmask_b32_e64 v2, 0, v2, s[2:3]
	v_cmp_nlt_f32_e64 s[2:3], s13, v4
	v_add_f32_e32 v1, v3, v1
	v_cndmask_b32_e64 v2, v26, v2, s[2:3]
	v_fma_f32 v1, v2, v1, v2
	v_cmp_class_f32_e64 s[2:3], v2, s12
	v_trunc_f32_e32 v3, v29
	v_cndmask_b32_e64 v1, v1, v2, s[2:3]
	v_cndmask_b32_e64 v2, v43, 1.0, s[0:1]
	v_cmp_eq_f32_e64 s[0:1], v3, v29
	v_mul_f32_e32 v3, 0.5, v29
	v_trunc_f32_e32 v4, v3
	v_cmp_neq_f32_e64 s[2:3], v4, v3
	s_and_b64 s[2:3], s[0:1], s[2:3]
	v_cndmask_b32_e64 v3, 1.0, v2, s[2:3]
	v_bfi_b32 v1, s15, v1, v3
	v_cndmask_b32_e64 v3, v28, v1, s[0:1]
	v_cmp_gt_f32_e64 s[0:1], 0, v2
	v_cndmask_b32_e64 v1, v1, v3, s[0:1]
	v_cndmask_b32_e64 v3, |v20|, 1.0, vcc
	v_cmp_neq_f32_e32 vcc, v29, v3
	v_cmp_gt_f32_e64 s[0:1], 1.0, v30
	s_xor_b64 s[0:1], vcc, s[0:1]
	v_cndmask_b32_e64 v4, v3, 0, s[0:1]
	v_cmp_eq_f32_e32 vcc, 1.0, v30
	v_cmp_eq_f32_e64 s[0:1], 0, v2
	v_cmp_gt_f32_e64 s[6:7], 0, v29
	v_cndmask_b32_e32 v4, v4, v30, vcc
	v_cmp_eq_f32_e32 vcc, s11, v3
	s_xor_b64 s[6:7], s[6:7], s[0:1]
	v_cndmask_b32_e32 v1, v1, v4, vcc
	v_cmp_eq_f32_e32 vcc, s11, v30
	v_cndmask_b32_e64 v3, v26, 0, s[6:7]
	v_cndmask_b32_e64 v4, 0, v2, s[2:3]
	v_bfi_b32 v3, s15, v3, v4
	s_or_b64 vcc, vcc, s[0:1]
	v_cndmask_b32_e32 v1, v1, v3, vcc
	v_sub_f32_e32 v1, 1.0, v1
	v_cmp_o_f32_e32 vcc, v2, v29
	v_cndmask_b32_e32 v1, v28, v1, vcc
	s_mov_b32 s0, 0xf800000
	v_mul_f32_e32 v2, 0x4f800000, v1
	v_cmp_gt_f32_e32 vcc, s0, v1
	v_cndmask_b32_e32 v1, v1, v2, vcc
	v_sqrt_f32_e32 v2, v1
	v_sub_f32_e32 v3, 1.0, v22
	v_cmp_o_f32_e64 s[0:1], v27, v21
	v_cndmask_b32_e64 v24, v28, v3, s[0:1]
	v_add_u32_e32 v3, -1, v2
	v_fma_f32 v4, -v3, v2, v1
	v_cmp_ge_f32_e64 s[0:1], 0, v4
	v_add_u32_e32 v4, 1, v2
	s_load_dwordx2 s[34:35], s[4:5], s8 offset:0x0
	s_load_dwordx2 s[30:31], s[4:5], s8 offset:0x120
	;; [unrolled: 1-line block ×4, first 2 shown]
	v_cndmask_b32_e64 v3, v2, v3, s[0:1]
	v_fma_f32 v2, -v4, v2, v1
	v_cmp_lt_f32_e64 s[0:1], 0, v2
	s_ashr_i32 s11, s10, 31
	v_cndmask_b32_e64 v2, v3, v4, s[0:1]
	s_lshl_b64 s[0:1], s[10:11], 16
	s_sub_u32 s14, s22, s0
	s_subb_u32 s15, s23, s1
	s_waitcnt lgkmcnt(0)
	s_or_b32 s0, s12, s28
	s_or_b32 s0, s0, s30
	s_lshl_b64 s[20:21], s[10:11], 17
	s_and_b32 s2, s34, 7
	s_and_b32 s0, s0, 7
	s_cmp_lg_u32 s0, 0
	s_cselect_b64 s[0:1], -1, 0
	s_and_b32 s3, s22, 3
	s_mov_b32 s9, 0
	s_or_b32 s8, s2, s3
	v_mul_f32_e32 v3, 0x37800000, v2
	s_cmp_lg_u64 s[8:9], 0
	v_cndmask_b32_e32 v2, v2, v3, vcc
	v_mov_b32_e32 v3, 0x260
	s_cselect_b64 s[2:3], -1, 0
	v_cmp_class_f32_e32 vcc, v1, v3
	s_or_b64 s[0:1], s[0:1], s[2:3]
	v_cndmask_b32_e32 v46, v2, v1, vcc
	s_andn2_b64 vcc, exec, s[0:1]
	s_mov_b64 s[0:1], -1
	s_cbranch_vccz .LBB4_30
; %bb.7:
	v_mov_b32_e32 v3, 0
	v_lshlrev_b32_e32 v2, 2, v0
	v_cmp_gt_i64_e32 vcc, s[14:15], v[2:3]
	s_and_saveexec_b64 s[10:11], vcc
	s_cbranch_execz .LBB4_29
; %bb.8:
	v_div_scale_f32 v1, s[0:1], v24, v24, v5
	v_rcp_f32_e32 v2, v1
	s_load_dword s6, s[4:5], 0xd64
	s_cmp_lg_u64 s[16:17], 0
	s_cselect_b64 s[2:3], -1, 0
	v_fma_f32 v4, -v1, v2, 1.0
	v_fmac_f32_e32 v2, v4, v2
	v_div_scale_f32 v4, vcc, v5, v24, v5
	v_mul_f32_e32 v6, v4, v2
	v_fma_f32 v7, -v1, v6, v4
	v_fmac_f32_e32 v6, v7, v2
	v_fma_f32 v1, -v1, v6, v4
	v_div_fmas_f32 v1, v1, v2, v6
	v_div_fixup_f32 v25, v1, v24, v5
	v_lshlrev_b32_e32 v1, 3, v0
	s_waitcnt lgkmcnt(0)
	s_and_b32 s6, s6, 0xffff
	v_mov_b32_e32 v2, s21
	v_add_co_u32_e32 v4, vcc, s20, v1
	v_addc_co_u32_e32 v1, vcc, 0, v2, vcc
	v_add_lshl_u32 v2, v0, s6, 2
	v_cndmask_b32_e64 v6, 0, 1, s[2:3]
	s_mov_b64 s[22:23], 0
	v_cmp_neq_f32_e64 s[0:1], 0, v44
	s_lshl_b32 s8, s6, 3
	s_lshl_b32 s26, s6, 2
	s_mov_b32 s27, s9
	v_mov_b32_e32 v26, s35
	v_mov_b32_e32 v27, s31
	;; [unrolled: 1-line block ×4, first 2 shown]
	v_cmp_ne_u32_e64 s[2:3], 1, v6
	s_movk_i32 s33, 0x7fff
	s_mov_b32 s36, 0xf800000
	v_mov_b32_e32 v30, 0x260
	s_mov_b64 s[24:25], 0xffff
	v_mov_b32_e32 v31, 0x7fc0
	v_mov_b32_e32 v32, 0x7fc00000
	v_pk_mov_b32 v[6:7], v[2:3], v[2:3] op_sel:[0,1]
	s_branch .LBB4_10
.LBB4_9:                                ;   in Loop: Header=BB4_10 Depth=1
	v_bfe_u32 v12, v33, 16, 1
	v_add3_u32 v12, v33, v12, s33
	v_bfe_u32 v13, v2, 16, 1
	v_lshrrev_b32_e32 v12, 16, v12
	v_cmp_o_f32_e32 vcc, v33, v33
	v_add3_u32 v13, v2, v13, s33
	v_cndmask_b32_e32 v12, v31, v12, vcc
	v_lshrrev_b32_e32 v13, 16, v13
	v_cmp_o_f32_e32 vcc, v2, v2
	v_cndmask_b32_e32 v2, v31, v13, vcc
	v_bfe_u32 v13, v35, 16, 1
	v_add3_u32 v13, v35, v13, s33
	v_and_b32_e32 v13, 0xffff0000, v13
	v_cmp_o_f32_e32 vcc, v35, v35
	v_cndmask_b32_e32 v13, v32, v13, vcc
	v_or_b32_e32 v12, v13, v12
	v_bfe_u32 v13, v34, 16, 1
	v_add3_u32 v13, v34, v13, s33
	v_and_b32_e32 v13, 0xffff0000, v13
	v_cmp_o_f32_e32 vcc, v34, v34
	v_cndmask_b32_e32 v13, v32, v13, vcc
	v_or_b32_e32 v2, v13, v2
	v_bfe_u32 v13, v18, 16, 1
	v_add3_u32 v13, v18, v13, s33
	v_bfe_u32 v14, v20, 16, 1
	v_lshrrev_b32_e32 v13, 16, v13
	v_cmp_o_f32_e32 vcc, v18, v18
	v_add3_u32 v14, v20, v14, s33
	v_bfe_u32 v15, v21, 16, 1
	v_cndmask_b32_e32 v13, v31, v13, vcc
	v_lshrrev_b32_e32 v14, 16, v14
	v_cmp_o_f32_e32 vcc, v20, v20
	v_add3_u32 v15, v21, v15, s33
	v_cndmask_b32_e32 v14, v31, v14, vcc
	v_and_b32_e32 v15, 0xffff0000, v15
	v_cmp_o_f32_e32 vcc, v21, v21
	v_cndmask_b32_e32 v15, v32, v15, vcc
	v_or3_b32 v13, 0, v13, v15
	v_bfe_u32 v15, v19, 16, 1
	v_add3_u32 v15, v19, v15, s33
	v_and_b32_e32 v15, 0xffff0000, v15
	v_cmp_o_f32_e32 vcc, v19, v19
	v_cndmask_b32_e32 v15, v32, v15, vcc
	v_cmp_le_i64_e32 vcc, s[14:15], v[6:7]
	v_cmp_lt_u64_e64 s[6:7], s[24:25], v[6:7]
	v_or3_b32 v15, 0, v14, v15
	v_or3_b32 v14, v2, 0, 0
	s_or_b64 s[6:7], vcc, s[6:7]
	v_mov_b32_e32 v2, s9
	v_add_co_u32_e32 v4, vcc, s8, v4
	v_addc_co_u32_e32 v1, vcc, v1, v2, vcc
	v_mov_b32_e32 v2, s27
	s_and_b64 s[6:7], exec, s[6:7]
	v_add_co_u32_e32 v6, vcc, s26, v6
	v_or3_b32 v12, v12, 0, 0
	s_or_b64 s[22:23], s[6:7], s[22:23]
	v_addc_co_u32_e32 v7, vcc, v7, v2, vcc
	global_store_dwordx2 v[8:9], v[12:13], off
	global_store_dwordx2 v[10:11], v[14:15], off
	s_andn2_b64 exec, exec, s[22:23]
	s_cbranch_execz .LBB4_29
.LBB4_10:                               ; =>This Inner Loop Header: Depth=1
	v_add_co_u32_e32 v12, vcc, s34, v4
	v_addc_co_u32_e32 v13, vcc, v26, v1, vcc
	v_add_co_u32_e32 v14, vcc, s30, v4
	v_addc_co_u32_e32 v15, vcc, v27, v1, vcc
	;; [unrolled: 2-line block ×3, first 2 shown]
	v_add_co_u32_e32 v10, vcc, s12, v4
	global_load_dwordx2 v[16:17], v[14:15], off
	v_addc_co_u32_e32 v11, vcc, v29, v1, vcc
	global_load_dwordx2 v[18:19], v[12:13], off
	global_load_dwordx2 v[20:21], v[8:9], off
	;; [unrolled: 1-line block ×3, first 2 shown]
	s_and_b64 vcc, exec, s[2:3]
	s_waitcnt vmcnt(3)
	v_lshlrev_b32_e32 v2, 16, v16
	s_cbranch_vccnz .LBB4_12
; %bb.11:                               ;   in Loop: Header=BB4_10 Depth=1
	global_load_dword v33, v3, s[16:17]
	s_waitcnt vmcnt(0)
	v_div_scale_f32 v34, s[6:7], v33, v33, v2
	v_rcp_f32_e32 v35, v34
	v_div_scale_f32 v36, vcc, v2, v33, v2
	v_fma_f32 v37, -v34, v35, 1.0
	v_fmac_f32_e32 v35, v37, v35
	v_mul_f32_e32 v37, v36, v35
	v_fma_f32 v38, -v34, v37, v36
	v_fmac_f32_e32 v37, v38, v35
	v_fma_f32 v34, -v34, v37, v36
	v_div_fmas_f32 v34, v34, v35, v37
	v_div_fixup_f32 v2, v34, v33, v2
.LBB4_12:                               ;   in Loop: Header=BB4_10 Depth=1
	s_and_b64 vcc, exec, s[2:3]
	s_cbranch_vccnz .LBB4_14
; %bb.13:                               ;   in Loop: Header=BB4_10 Depth=1
	v_bfe_u32 v33, v2, 16, 1
	v_add3_u32 v33, v2, v33, s33
	v_lshrrev_b32_e32 v33, 16, v33
	v_cmp_o_f32_e32 vcc, v2, v2
	v_cndmask_b32_e32 v33, v31, v33, vcc
	v_and_b32_e32 v16, 0xffff0000, v16
	v_or_b32_e32 v16, v33, v16
.LBB4_14:                               ;   in Loop: Header=BB4_10 Depth=1
	s_and_b64 vcc, exec, s[2:3]
	v_and_b32_e32 v34, 0xffff0000, v16
	s_cbranch_vccnz .LBB4_16
; %bb.15:                               ;   in Loop: Header=BB4_10 Depth=1
	global_load_dword v33, v3, s[16:17]
	s_waitcnt vmcnt(0)
	v_div_scale_f32 v35, s[6:7], v33, v33, v34
	v_rcp_f32_e32 v36, v35
	v_div_scale_f32 v37, vcc, v34, v33, v34
	v_fma_f32 v38, -v35, v36, 1.0
	v_fmac_f32_e32 v36, v38, v36
	v_mul_f32_e32 v38, v37, v36
	v_fma_f32 v39, -v35, v38, v37
	v_fmac_f32_e32 v38, v39, v36
	v_fma_f32 v35, -v35, v38, v37
	v_div_fmas_f32 v35, v35, v36, v38
	v_div_fixup_f32 v34, v35, v33, v34
.LBB4_16:                               ;   in Loop: Header=BB4_10 Depth=1
	s_and_b64 vcc, exec, s[2:3]
	s_cbranch_vccnz .LBB4_18
; %bb.17:                               ;   in Loop: Header=BB4_10 Depth=1
	v_bfe_u32 v33, v34, 16, 1
	v_add3_u32 v33, v34, v33, s33
	v_and_b32_e32 v33, 0xffff0000, v33
	v_cmp_o_f32_e32 vcc, v34, v34
	v_cndmask_b32_e32 v33, v32, v33, vcc
	v_and_b32_e32 v16, 0xffff, v16
	v_or_b32_e32 v16, v33, v16
.LBB4_18:                               ;   in Loop: Header=BB4_10 Depth=1
	v_alignbit_b32 v33, v17, v16, 16
	s_and_b64 vcc, exec, s[2:3]
	v_and_b32_e32 v37, 0xffff0000, v33
	s_cbranch_vccnz .LBB4_20
; %bb.19:                               ;   in Loop: Header=BB4_10 Depth=1
	global_load_dword v33, v3, s[16:17]
	s_waitcnt vmcnt(0)
	v_div_scale_f32 v35, s[6:7], v33, v33, v37
	v_rcp_f32_e32 v36, v35
	v_div_scale_f32 v38, vcc, v37, v33, v37
	v_fma_f32 v39, -v35, v36, 1.0
	v_fmac_f32_e32 v36, v39, v36
	v_mul_f32_e32 v39, v38, v36
	v_fma_f32 v40, -v35, v39, v38
	v_fmac_f32_e32 v39, v40, v36
	v_fma_f32 v35, -v35, v39, v38
	v_div_fmas_f32 v35, v35, v36, v39
	v_div_fixup_f32 v37, v35, v33, v37
.LBB4_20:                               ;   in Loop: Header=BB4_10 Depth=1
	s_and_b64 vcc, exec, s[2:3]
	s_cbranch_vccnz .LBB4_22
; %bb.21:                               ;   in Loop: Header=BB4_10 Depth=1
	v_bfe_u32 v33, v37, 16, 1
	v_add3_u32 v33, v37, v33, s33
	v_lshrrev_b32_e32 v33, 16, v33
	v_cmp_o_f32_e32 vcc, v37, v37
	v_cndmask_b32_e32 v33, v31, v33, vcc
	v_and_b32_e32 v17, 0xffff0000, v17
	v_or_b32_e32 v17, v33, v17
.LBB4_22:                               ;   in Loop: Header=BB4_10 Depth=1
	s_and_b64 vcc, exec, s[2:3]
	v_and_b32_e32 v36, 0xffff0000, v17
	s_cbranch_vccnz .LBB4_24
; %bb.23:                               ;   in Loop: Header=BB4_10 Depth=1
	global_load_dword v33, v3, s[16:17]
	s_waitcnt vmcnt(0)
	v_div_scale_f32 v35, s[6:7], v33, v33, v36
	v_rcp_f32_e32 v38, v35
	v_div_scale_f32 v39, vcc, v36, v33, v36
	v_fma_f32 v40, -v35, v38, 1.0
	v_fmac_f32_e32 v38, v40, v38
	v_mul_f32_e32 v40, v39, v38
	v_fma_f32 v41, -v35, v40, v39
	v_fmac_f32_e32 v40, v41, v38
	v_fma_f32 v35, -v35, v40, v39
	v_div_fmas_f32 v35, v35, v38, v40
	v_div_fixup_f32 v36, v35, v33, v36
.LBB4_24:                               ;   in Loop: Header=BB4_10 Depth=1
	s_and_b64 vcc, exec, s[2:3]
	s_cbranch_vccnz .LBB4_26
; %bb.25:                               ;   in Loop: Header=BB4_10 Depth=1
	v_bfe_u32 v33, v36, 16, 1
	v_add3_u32 v33, v36, v33, s33
	v_and_b32_e32 v33, 0xffff0000, v33
	v_cmp_o_f32_e32 vcc, v36, v36
	v_cndmask_b32_e32 v33, v32, v33, vcc
	v_and_b32_e32 v17, 0xffff, v17
	v_or_b32_e32 v17, v33, v17
.LBB4_26:                               ;   in Loop: Header=BB4_10 Depth=1
	s_waitcnt vmcnt(2)
	v_lshlrev_b32_e32 v38, 16, v18
	v_cndmask_b32_e64 v2, v2, -v2, s[18:19]
	v_fma_f32 v33, v44, v38, v2
	v_cndmask_b32_e64 v2, v2, v33, s[0:1]
	v_fma_f32 v33, -v42, v2, v2
	v_mul_f32_e32 v2, v2, v2
	s_waitcnt vmcnt(0)
	v_lshlrev_b32_e32 v39, 16, v22
	v_fma_f32 v2, -v43, v2, v2
	v_lshlrev_b32_e32 v35, 16, v20
	v_fmac_f32_e32 v2, v43, v39
	v_and_b32_e32 v39, 0xffff0000, v18
	v_cndmask_b32_e64 v34, v34, -v34, s[18:19]
	v_fmac_f32_e32 v33, v42, v35
	v_fma_f32 v35, v44, v39, v34
	v_cndmask_b32_e64 v34, v34, v35, s[0:1]
	v_fma_f32 v35, -v42, v34, v34
	v_mul_f32_e32 v34, v34, v34
	v_and_b32_e32 v40, 0xffff0000, v20
	v_and_b32_e32 v41, 0xffff0000, v22
	v_fma_f32 v34, -v43, v34, v34
	v_alignbit_b32 v18, v19, v18, 16
	v_fmac_f32_e32 v35, v42, v40
	v_fmac_f32_e32 v34, v43, v41
	v_and_b32_e32 v40, 0xffff0000, v18
	v_alignbit_b32 v18, v21, v20, 16
	v_mul_f32_e32 v41, 0x4f800000, v2
	v_cmp_gt_f32_e32 vcc, s36, v2
	v_and_b32_e32 v20, 0xffff0000, v18
	v_alignbit_b32 v18, v23, v22, 16
	v_cndmask_b32_e32 v41, v2, v41, vcc
	v_and_b32_e32 v22, 0xffff0000, v18
	v_cndmask_b32_e64 v18, v37, -v37, s[18:19]
	v_sqrt_f32_e32 v47, v41
	v_fma_f32 v37, v44, v40, v18
	v_cndmask_b32_e64 v37, v18, v37, s[0:1]
	v_fma_f32 v18, -v42, v37, v37
	v_fmac_f32_e32 v18, v42, v20
	v_add_u32_e32 v20, -1, v47
	v_fma_f32 v48, -v20, v47, v41
	v_cmp_ge_f32_e64 s[6:7], 0, v48
	v_add_u32_e32 v48, 1, v47
	v_cndmask_b32_e64 v20, v47, v20, s[6:7]
	v_fma_f32 v47, -v48, v47, v41
	v_cmp_lt_f32_e64 s[6:7], 0, v47
	v_cndmask_b32_e64 v20, v20, v48, s[6:7]
	v_mul_f32_e32 v47, 0x37800000, v20
	v_cndmask_b32_e32 v20, v20, v47, vcc
	v_cmp_class_f32_e32 vcc, v41, v30
	v_cndmask_b32_e32 v41, v20, v41, vcc
	v_div_scale_f32 v47, s[6:7], v46, v46, v41
	v_rcp_f32_e32 v48, v47
	v_mul_f32_e32 v20, v37, v37
	v_fma_f32 v20, -v43, v20, v20
	v_fmac_f32_e32 v20, v43, v22
	v_fma_f32 v22, -v47, v48, 1.0
	v_fmac_f32_e32 v48, v22, v48
	v_div_scale_f32 v22, vcc, v41, v46, v41
	v_mul_f32_e32 v37, v22, v48
	v_fma_f32 v49, -v47, v37, v22
	v_fmac_f32_e32 v37, v49, v48
	v_fma_f32 v22, -v47, v37, v22
	v_div_fmas_f32 v22, v22, v48, v37
	v_div_fixup_f32 v22, v22, v46, v41
	v_add_f32_e32 v22, v22, v45
	v_mul_f32_e32 v37, v25, v33
	v_div_scale_f32 v41, s[6:7], v22, v22, v37
	v_rcp_f32_e32 v47, v41
	v_and_b32_e32 v48, 0xffff0000, v19
	v_and_b32_e32 v49, 0xffff0000, v21
	;; [unrolled: 1-line block ×3, first 2 shown]
	v_fma_f32 v19, -v41, v47, 1.0
	v_fmac_f32_e32 v47, v19, v47
	v_div_scale_f32 v19, vcc, v37, v22, v37
	v_mul_f32_e32 v23, v19, v47
	v_fma_f32 v50, -v41, v23, v19
	v_fmac_f32_e32 v23, v50, v47
	v_fma_f32 v19, -v41, v23, v19
	v_mul_f32_e32 v41, 0x4f800000, v34
	v_cmp_gt_f32_e64 s[6:7], s36, v34
	v_cndmask_b32_e64 v41, v34, v41, s[6:7]
	v_sqrt_f32_e32 v50, v41
	v_div_fmas_f32 v19, v19, v47, v23
	v_div_fixup_f32 v19, v19, v22, v37
	v_sub_f32_e32 v19, v38, v19
	v_add_u32_e32 v22, -1, v50
	v_fma_f32 v23, -v22, v50, v41
	v_cmp_ge_f32_e32 vcc, 0, v23
	v_add_u32_e32 v23, 1, v50
	v_fma_f32 v37, -v23, v50, v41
	v_cndmask_b32_e32 v22, v50, v22, vcc
	v_cmp_lt_f32_e32 vcc, 0, v37
	v_cndmask_b32_e32 v22, v22, v23, vcc
	v_mul_f32_e32 v23, 0x37800000, v22
	v_cndmask_b32_e64 v22, v22, v23, s[6:7]
	v_cmp_class_f32_e32 vcc, v41, v30
	v_cndmask_b32_e32 v22, v22, v41, vcc
	v_div_scale_f32 v23, s[6:7], v46, v46, v22
	v_rcp_f32_e32 v37, v23
	v_bfe_u32 v38, v19, 16, 1
	v_add3_u32 v38, v19, v38, s33
	v_lshrrev_b32_e32 v38, 16, v38
	v_fma_f32 v41, -v23, v37, 1.0
	v_fmac_f32_e32 v37, v41, v37
	v_div_scale_f32 v41, vcc, v22, v46, v22
	v_mul_f32_e32 v47, v41, v37
	v_fma_f32 v50, -v23, v47, v41
	v_fmac_f32_e32 v47, v50, v37
	v_fma_f32 v23, -v23, v47, v41
	v_div_fmas_f32 v23, v23, v37, v47
	v_div_fixup_f32 v22, v23, v46, v22
	v_add_f32_e32 v22, v22, v45
	v_mul_f32_e32 v23, v25, v35
	v_div_scale_f32 v37, s[6:7], v22, v22, v23
	v_rcp_f32_e32 v41, v37
	v_cmp_o_f32_e32 vcc, v19, v19
	v_cndmask_b32_e32 v19, v31, v38, vcc
	v_cmp_gt_f32_e64 s[6:7], s36, v20
	v_fma_f32 v38, -v37, v41, 1.0
	v_fmac_f32_e32 v41, v38, v41
	v_div_scale_f32 v38, vcc, v23, v22, v23
	v_mul_f32_e32 v47, v38, v41
	v_fma_f32 v50, -v37, v47, v38
	v_fmac_f32_e32 v47, v50, v41
	v_fma_f32 v37, -v37, v47, v38
	v_mul_f32_e32 v38, 0x4f800000, v20
	v_cndmask_b32_e64 v38, v20, v38, s[6:7]
	v_sqrt_f32_e32 v50, v38
	v_div_fmas_f32 v37, v37, v41, v47
	v_div_fixup_f32 v22, v37, v22, v23
	v_sub_f32_e32 v22, v39, v22
	v_add_u32_e32 v23, -1, v50
	v_fma_f32 v37, -v23, v50, v38
	v_cmp_ge_f32_e32 vcc, 0, v37
	v_add_u32_e32 v37, 1, v50
	v_fma_f32 v39, -v37, v50, v38
	v_cndmask_b32_e32 v23, v50, v23, vcc
	v_cmp_lt_f32_e32 vcc, 0, v39
	v_cndmask_b32_e32 v23, v23, v37, vcc
	v_mul_f32_e32 v37, 0x37800000, v23
	v_cndmask_b32_e64 v23, v23, v37, s[6:7]
	v_cmp_class_f32_e32 vcc, v38, v30
	v_cndmask_b32_e32 v23, v23, v38, vcc
	v_div_scale_f32 v37, s[6:7], v46, v46, v23
	v_rcp_f32_e32 v38, v37
	v_bfe_u32 v39, v22, 16, 1
	v_add3_u32 v39, v22, v39, s33
	v_and_b32_e32 v39, 0xffff0000, v39
	v_fma_f32 v41, -v37, v38, 1.0
	v_fmac_f32_e32 v38, v41, v38
	v_div_scale_f32 v41, vcc, v23, v46, v23
	v_mul_f32_e32 v47, v41, v38
	v_fma_f32 v50, -v37, v47, v41
	v_fmac_f32_e32 v47, v50, v38
	v_fma_f32 v37, -v37, v47, v41
	v_div_fmas_f32 v37, v37, v38, v47
	v_div_fixup_f32 v23, v37, v46, v23
	v_add_f32_e32 v23, v23, v45
	v_mul_f32_e32 v37, v25, v18
	v_div_scale_f32 v38, s[6:7], v23, v23, v37
	v_rcp_f32_e32 v41, v38
	v_cmp_o_f32_e32 vcc, v22, v22
	v_cndmask_b32_e32 v22, v32, v39, vcc
	v_or_b32_e32 v22, v22, v19
	v_fma_f32 v19, -v38, v41, 1.0
	v_fmac_f32_e32 v41, v19, v41
	v_div_scale_f32 v19, vcc, v37, v23, v37
	v_mul_f32_e32 v39, v19, v41
	v_fma_f32 v47, -v38, v39, v19
	v_fmac_f32_e32 v39, v47, v41
	v_fma_f32 v19, -v38, v39, v19
	v_div_fmas_f32 v38, v19, v41, v39
	v_cndmask_b32_e64 v19, v36, -v36, s[18:19]
	v_fma_f32 v36, v44, v48, v19
	v_cndmask_b32_e64 v36, v19, v36, s[0:1]
	v_mul_f32_e32 v19, v36, v36
	v_fma_f32 v19, -v43, v19, v19
	v_fmac_f32_e32 v19, v43, v21
	v_mul_f32_e32 v21, 0x4f800000, v19
	v_cmp_gt_f32_e32 vcc, s36, v19
	v_cndmask_b32_e32 v21, v19, v21, vcc
	v_sqrt_f32_e32 v39, v21
	v_div_fixup_f32 v23, v38, v23, v37
	v_sub_f32_e32 v23, v40, v23
	v_bfe_u32 v37, v23, 16, 1
	v_add_u32_e32 v38, -1, v39
	v_fma_f32 v40, -v38, v39, v21
	v_cmp_ge_f32_e64 s[6:7], 0, v40
	v_add_u32_e32 v40, 1, v39
	v_cndmask_b32_e64 v38, v39, v38, s[6:7]
	v_fma_f32 v39, -v40, v39, v21
	v_cmp_lt_f32_e64 s[6:7], 0, v39
	v_cndmask_b32_e64 v38, v38, v40, s[6:7]
	v_mul_f32_e32 v39, 0x37800000, v38
	v_cndmask_b32_e32 v38, v38, v39, vcc
	v_cmp_class_f32_e32 vcc, v21, v30
	v_cndmask_b32_e32 v38, v38, v21, vcc
	v_div_scale_f32 v39, s[6:7], v46, v46, v38
	v_rcp_f32_e32 v40, v39
	v_fma_f32 v21, -v42, v36, v36
	v_fmac_f32_e32 v21, v42, v49
	v_add3_u32 v37, v23, v37, s33
	v_fma_f32 v36, -v39, v40, 1.0
	v_fmac_f32_e32 v40, v36, v40
	v_div_scale_f32 v36, vcc, v38, v46, v38
	v_mul_f32_e32 v41, v36, v40
	v_fma_f32 v47, -v39, v41, v36
	v_fmac_f32_e32 v41, v47, v40
	v_fma_f32 v36, -v39, v41, v36
	v_div_fmas_f32 v36, v36, v40, v41
	v_div_fixup_f32 v36, v36, v46, v38
	v_add_f32_e32 v36, v36, v45
	v_mul_f32_e32 v38, v25, v21
	v_div_scale_f32 v39, s[6:7], v36, v36, v38
	v_rcp_f32_e32 v40, v39
	v_lshrrev_b32_e32 v37, 16, v37
	v_cmp_o_f32_e32 vcc, v23, v23
	v_cndmask_b32_e32 v23, v31, v37, vcc
	v_fma_f32 v37, -v39, v40, 1.0
	v_fmac_f32_e32 v40, v37, v40
	v_div_scale_f32 v37, vcc, v38, v36, v38
	v_mul_f32_e32 v41, v37, v40
	v_fma_f32 v47, -v39, v41, v37
	v_fmac_f32_e32 v41, v47, v40
	v_fma_f32 v37, -v39, v41, v37
	v_div_fmas_f32 v37, v37, v40, v41
	v_div_fixup_f32 v36, v37, v36, v38
	v_sub_f32_e32 v36, v48, v36
	v_bfe_u32 v37, v36, 16, 1
	v_add3_u32 v37, v36, v37, s33
	v_and_b32_e32 v37, 0xffff0000, v37
	v_cmp_o_f32_e32 vcc, v36, v36
	v_cndmask_b32_e32 v36, v32, v37, vcc
	v_or3_b32 v23, 0, v23, v36
	v_or3_b32 v22, v22, 0, 0
	s_and_b64 vcc, exec, s[2:3]
	global_store_dwordx2 v[12:13], v[22:23], off
	s_cbranch_vccnz .LBB4_9
; %bb.27:                               ;   in Loop: Header=BB4_10 Depth=1
	global_store_dwordx2 v[14:15], v[16:17], off
	s_branch .LBB4_9
.LBB4_28:
                                        ; implicit-def: $sgpr8
	v_mov_b32_e32 v5, s8
	s_branch .LBB4_2
.LBB4_29:
	s_or_b64 exec, exec, s[10:11]
	s_mov_b64 s[0:1], 0
.LBB4_30:
	s_andn2_b64 vcc, exec, s[0:1]
	s_cbranch_vccnz .LBB4_101
; %bb.31:
	v_cmp_lt_i64_e64 s[0:1], s[14:15], 1
	s_and_b64 vcc, exec, s[0:1]
	s_cbranch_vccnz .LBB4_101
; %bb.32:
	s_load_dword s0, s[4:5], 0xd64
	v_mov_b32_e32 v6, 0x10000
	v_mov_b32_e32 v7, 0
	v_cmp_lt_u64_e32 vcc, s[14:15], v[6:7]
	v_mov_b32_e32 v23, s35
	s_waitcnt lgkmcnt(0)
	s_and_b32 s4, s0, 0xffff
	v_div_scale_f32 v1, s[0:1], v24, v24, v5
	v_rcp_f32_e32 v2, v1
	s_and_b64 s[0:1], vcc, exec
	v_mov_b32_e32 v3, 0
	v_mov_b32_e32 v25, s31
	v_fma_f32 v4, -v1, v2, 1.0
	v_fmac_f32_e32 v2, v4, v2
	v_div_scale_f32 v4, vcc, v5, v24, v5
	v_mul_f32_e32 v6, v4, v2
	v_fma_f32 v7, -v1, v6, v4
	v_fmac_f32_e32 v6, v7, v2
	v_fma_f32 v1, -v1, v6, v4
	v_div_fmas_f32 v1, v1, v2, v6
	v_lshlrev_b32_e32 v2, 1, v0
	v_add_co_u32_e32 v4, vcc, s34, v2
	v_div_fixup_f32 v47, v1, v24, v5
	v_addc_co_u32_e32 v1, vcc, 0, v23, vcc
	v_add_co_u32_e32 v6, vcc, s30, v2
	v_addc_co_u32_e32 v5, vcc, 0, v25, vcc
	v_mad_u64_u32 v[14:15], s[2:3], s4, 6, v[2:3]
	v_add_co_u32_e32 v8, vcc, s34, v14
	v_addc_co_u32_e32 v7, vcc, v23, v15, vcc
	v_add_co_u32_e32 v10, vcc, s30, v14
	v_addc_co_u32_e32 v9, vcc, v25, v15, vcc
	v_mov_b32_e32 v29, s29
	v_add_co_u32_e32 v12, vcc, s28, v14
	v_addc_co_u32_e32 v11, vcc, v29, v15, vcc
	s_cselect_b32 s23, s15, 0
	s_cselect_b32 s22, s14, 0x10000
	s_lshl_b32 s5, s4, 1
	v_mov_b32_e32 v33, s13
	v_add_co_u32_e32 v14, vcc, s12, v14
	s_mul_i32 s6, s4, 3
	s_cmp_lg_u64 s[16:17], 0
	v_addc_co_u32_e32 v13, vcc, v33, v15, vcc
	s_cselect_b64 s[26:27], -1, 0
	s_lshl_b32 s36, s4, 2
	v_add_co_u32_e32 v48, vcc, s6, v0
	v_addc_co_u32_e64 v49, s[2:3], 0, 0, vcc
	v_add_co_u32_e32 v21, vcc, s36, v2
	v_addc_co_u32_e64 v24, s[2:3], 0, 0, vcc
	v_add_co_u32_e32 v16, vcc, s34, v21
	v_addc_co_u32_e32 v15, vcc, v23, v24, vcc
	v_add_co_u32_e32 v18, vcc, s30, v21
	v_addc_co_u32_e32 v17, vcc, v25, v24, vcc
	;; [unrolled: 2-line block ×4, first 2 shown]
	v_add_co_u32_e32 v50, vcc, s5, v0
	v_addc_co_u32_e64 v51, s[2:3], 0, 0, vcc
	v_add_co_u32_e32 v52, vcc, s4, v0
	v_lshlrev_b32_e32 v31, 1, v52
	v_addc_co_u32_e64 v53, s[2:3], 0, 0, vcc
	v_add_co_u32_e32 v24, vcc, s34, v31
	v_addc_co_u32_e32 v23, vcc, 0, v23, vcc
	v_add_co_u32_e32 v26, vcc, s30, v31
	v_addc_co_u32_e32 v25, vcc, 0, v25, vcc
	;; [unrolled: 2-line block ×4, first 2 shown]
	v_add_co_u32_e32 v32, vcc, s12, v31
	v_add_co_u32_e64 v34, s[2:3], s12, v2
	s_mov_b32 s33, 0
	s_mov_b64 s[24:25], 0
	v_cmp_neq_f32_e64 s[0:1], 0, v44
	s_lshl_b32 s35, s4, 3
	s_movk_i32 s31, 0x7fff
	s_mov_b32 s34, 0xf800000
	v_addc_co_u32_e64 v31, s[2:3], 0, v33, s[2:3]
	v_addc_co_u32_e32 v33, vcc, 0, v33, vcc
	v_mov_b32_e32 v54, 0x260
	v_mov_b32_e32 v55, 0x7fc0
	;; [unrolled: 1-line block ×3, first 2 shown]
	s_branch .LBB4_34
.LBB4_33:                               ;   in Loop: Header=BB4_34 Depth=1
	s_or_b64 exec, exec, s[2:3]
	s_add_u32 s24, s24, s36
	s_addc_u32 s25, s25, 0
	v_pk_mov_b32 v[36:37], s[14:15], s[14:15] op_sel:[0,1]
	v_cmp_ge_i64_e32 vcc, s[24:25], v[36:37]
	v_mov_b32_e32 v36, 0xffff
	v_mov_b32_e32 v37, 0
	v_cmp_gt_u64_e64 s[2:3], s[24:25], v[36:37]
	s_or_b64 s[2:3], vcc, s[2:3]
	v_mov_b32_e32 v2, s33
	v_add_co_u32_e32 v4, vcc, s35, v4
	v_addc_co_u32_e32 v1, vcc, v1, v2, vcc
	v_add_co_u32_e32 v6, vcc, s35, v6
	v_addc_co_u32_e32 v5, vcc, v5, v2, vcc
	;; [unrolled: 2-line block ×16, first 2 shown]
	s_and_b64 vcc, exec, s[2:3]
	s_cbranch_vccnz .LBB4_101
.LBB4_34:                               ; =>This Inner Loop Header: Depth=1
	v_mov_b32_e32 v2, s25
	v_add_co_u32_e32 v36, vcc, s24, v0
	v_addc_co_u32_e32 v37, vcc, 0, v2, vcc
	v_cmp_gt_u64_e64 s[2:3], s[22:23], v[36:37]
	v_pk_mov_b32 v[36:37], 0, 0
	v_pk_mov_b32 v[38:39], v[36:37], v[36:37] op_sel:[0,1]
	v_mov_b32_e32 v2, 0
	s_and_saveexec_b64 s[4:5], s[2:3]
	s_cbranch_execz .LBB4_36
; %bb.35:                               ;   in Loop: Header=BB4_34 Depth=1
	v_mov_b32_e32 v2, s21
	v_add_co_u32_e32 v38, vcc, s20, v4
	v_addc_co_u32_e32 v39, vcc, v1, v2, vcc
	global_load_ushort v35, v[38:39], off
	v_add_co_u32_e32 v38, vcc, s20, v6
	v_addc_co_u32_e32 v39, vcc, v5, v2, vcc
	global_load_ushort v2, v[38:39], off
	v_mov_b32_e32 v39, s33
	s_waitcnt vmcnt(1)
	v_and_b32_e32 v38, 0xffff, v35
.LBB4_36:                               ;   in Loop: Header=BB4_34 Depth=1
	s_or_b64 exec, exec, s[4:5]
	v_mov_b32_e32 v35, 0
	v_mov_b32_e32 v60, 0
	s_and_saveexec_b64 s[4:5], s[2:3]
	s_cbranch_execz .LBB4_38
; %bb.37:                               ;   in Loop: Header=BB4_34 Depth=1
	v_mov_b32_e32 v40, s21
	v_add_co_u32_e32 v36, vcc, s20, v28
	v_addc_co_u32_e32 v37, vcc, v27, v40, vcc
	global_load_ushort v41, v[36:37], off
	v_add_co_u32_e32 v36, vcc, s20, v34
	v_addc_co_u32_e32 v37, vcc, v31, v40, vcc
	global_load_ushort v60, v[36:37], off
	v_mov_b32_e32 v37, s33
	s_waitcnt vmcnt(1)
	v_and_b32_e32 v36, 0xffff, v41
.LBB4_38:                               ;   in Loop: Header=BB4_34 Depth=1
	s_or_b64 exec, exec, s[4:5]
	v_mov_b32_e32 v41, s25
	v_add_co_u32_e32 v40, vcc, s24, v52
	v_addc_co_u32_e32 v41, vcc, v53, v41, vcc
	v_cmp_gt_u64_e64 s[4:5], s[22:23], v[40:41]
	s_and_saveexec_b64 s[6:7], s[4:5]
	s_cbranch_execz .LBB4_40
; %bb.39:                               ;   in Loop: Header=BB4_34 Depth=1
	v_mov_b32_e32 v35, s21
	v_add_co_u32_e32 v40, vcc, s20, v24
	v_addc_co_u32_e32 v41, vcc, v23, v35, vcc
	global_load_ushort v57, v[40:41], off
	v_add_co_u32_e32 v40, vcc, s20, v26
	v_addc_co_u32_e32 v41, vcc, v25, v35, vcc
	global_load_ushort v35, v[40:41], off
	s_waitcnt vmcnt(1)
	v_lshl_or_b32 v38, v57, 16, v38
.LBB4_40:                               ;   in Loop: Header=BB4_34 Depth=1
	s_or_b64 exec, exec, s[6:7]
	v_mov_b32_e32 v61, 0
	v_mov_b32_e32 v59, 0
	s_and_saveexec_b64 s[6:7], s[4:5]
	s_cbranch_execz .LBB4_42
; %bb.41:                               ;   in Loop: Header=BB4_34 Depth=1
	v_mov_b32_e32 v57, s21
	v_add_co_u32_e32 v40, vcc, s20, v30
	v_addc_co_u32_e32 v41, vcc, v29, v57, vcc
	global_load_ushort v58, v[40:41], off
	v_add_co_u32_e32 v40, vcc, s20, v32
	v_addc_co_u32_e32 v41, vcc, v33, v57, vcc
	global_load_ushort v59, v[40:41], off
	s_waitcnt vmcnt(1)
	v_lshl_or_b32 v36, v58, 16, v36
.LBB4_42:                               ;   in Loop: Header=BB4_34 Depth=1
	s_or_b64 exec, exec, s[6:7]
	v_mov_b32_e32 v41, s25
	v_add_co_u32_e32 v40, vcc, s24, v50
	v_addc_co_u32_e32 v41, vcc, v51, v41, vcc
	v_cmp_gt_u64_e64 s[6:7], s[22:23], v[40:41]
	s_and_saveexec_b64 s[8:9], s[6:7]
	s_cbranch_execz .LBB4_44
; %bb.43:                               ;   in Loop: Header=BB4_34 Depth=1
	v_mov_b32_e32 v57, s21
	v_add_co_u32_e32 v40, vcc, s20, v16
	v_addc_co_u32_e32 v41, vcc, v15, v57, vcc
	global_load_ushort v58, v[40:41], off
	v_add_co_u32_e32 v40, vcc, s20, v18
	v_addc_co_u32_e32 v41, vcc, v17, v57, vcc
	global_load_ushort v61, v[40:41], off
	s_waitcnt vmcnt(1)
	v_or_b32_e32 v39, v58, v39
.LBB4_44:                               ;   in Loop: Header=BB4_34 Depth=1
	s_or_b64 exec, exec, s[8:9]
	v_mov_b32_e32 v62, 0
	v_mov_b32_e32 v58, 0
	s_and_saveexec_b64 s[8:9], s[6:7]
	s_cbranch_execz .LBB4_46
; %bb.45:                               ;   in Loop: Header=BB4_34 Depth=1
	v_mov_b32_e32 v57, s21
	v_add_co_u32_e32 v40, vcc, s20, v20
	v_addc_co_u32_e32 v41, vcc, v19, v57, vcc
	global_load_ushort v63, v[40:41], off
	v_add_co_u32_e32 v40, vcc, s20, v22
	v_addc_co_u32_e32 v41, vcc, v21, v57, vcc
	global_load_ushort v58, v[40:41], off
	s_waitcnt vmcnt(1)
	v_or_b32_e32 v37, v63, v37
.LBB4_46:                               ;   in Loop: Header=BB4_34 Depth=1
	s_or_b64 exec, exec, s[8:9]
	v_mov_b32_e32 v41, s25
	v_add_co_u32_e32 v40, vcc, s24, v48
	v_addc_co_u32_e32 v41, vcc, v49, v41, vcc
	v_cmp_gt_u64_e64 s[8:9], s[22:23], v[40:41]
	s_and_saveexec_b64 s[10:11], s[8:9]
	s_cbranch_execz .LBB4_48
; %bb.47:                               ;   in Loop: Header=BB4_34 Depth=1
	v_mov_b32_e32 v57, s21
	v_add_co_u32_e32 v40, vcc, s20, v8
	v_addc_co_u32_e32 v41, vcc, v7, v57, vcc
	global_load_ushort v63, v[40:41], off
	v_add_co_u32_e32 v40, vcc, s20, v10
	v_addc_co_u32_e32 v41, vcc, v9, v57, vcc
	global_load_ushort v62, v[40:41], off
	s_waitcnt vmcnt(1)
	v_lshlrev_b32_e32 v40, 16, v63
	v_or_b32_e32 v39, v40, v39
.LBB4_48:                               ;   in Loop: Header=BB4_34 Depth=1
	s_or_b64 exec, exec, s[10:11]
	v_mov_b32_e32 v57, 0
	s_and_saveexec_b64 s[10:11], s[8:9]
	s_cbranch_execz .LBB4_50
; %bb.49:                               ;   in Loop: Header=BB4_34 Depth=1
	v_mov_b32_e32 v57, s21
	v_add_co_u32_e32 v40, vcc, s20, v12
	v_addc_co_u32_e32 v41, vcc, v11, v57, vcc
	global_load_ushort v63, v[40:41], off
	v_add_co_u32_e32 v40, vcc, s20, v14
	v_addc_co_u32_e32 v41, vcc, v13, v57, vcc
	global_load_ushort v57, v[40:41], off
	s_waitcnt vmcnt(1)
	v_lshlrev_b32_e32 v40, 16, v63
	v_or_b32_e32 v37, v40, v37
.LBB4_50:                               ;   in Loop: Header=BB4_34 Depth=1
	s_or_b64 exec, exec, s[10:11]
	v_cndmask_b32_e64 v40, 0, 1, s[26:27]
	v_cmp_ne_u32_e64 s[10:11], 1, v40
	s_andn2_b64 vcc, exec, s[26:27]
	s_waitcnt vmcnt(0)
	v_lshlrev_b32_e32 v64, 16, v2
	s_cbranch_vccnz .LBB4_52
; %bb.51:                               ;   in Loop: Header=BB4_34 Depth=1
	s_load_dword s28, s[16:17], 0x0
	s_waitcnt lgkmcnt(0)
	v_div_scale_f32 v40, s[12:13], s28, s28, v64
	v_rcp_f32_e32 v41, v40
	v_div_scale_f32 v63, vcc, v64, s28, v64
	v_fma_f32 v65, -v40, v41, 1.0
	v_fmac_f32_e32 v41, v65, v41
	v_mul_f32_e32 v65, v63, v41
	v_fma_f32 v66, -v40, v65, v63
	v_fmac_f32_e32 v65, v66, v41
	v_fma_f32 v40, -v40, v65, v63
	v_div_fmas_f32 v40, v40, v41, v65
	v_div_fixup_f32 v64, v40, s28, v64
.LBB4_52:                               ;   in Loop: Header=BB4_34 Depth=1
	s_and_b64 vcc, exec, s[10:11]
	s_cbranch_vccnz .LBB4_54
; %bb.53:                               ;   in Loop: Header=BB4_34 Depth=1
	v_bfe_u32 v2, v64, 16, 1
	v_add3_u32 v2, v64, v2, s31
	v_lshrrev_b32_e32 v2, 16, v2
	v_cmp_o_f32_e32 vcc, v64, v64
	v_cndmask_b32_e32 v2, v55, v2, vcc
	v_pk_mov_b32 v[40:41], v[2:3], v[2:3] op_sel:[0,1]
	s_branch .LBB4_55
.LBB4_54:                               ;   in Loop: Header=BB4_34 Depth=1
	v_and_b32_e32 v40, 0xffff, v2
	v_mov_b32_e32 v41, s33
.LBB4_55:                               ;   in Loop: Header=BB4_34 Depth=1
	v_lshlrev_b32_e32 v2, 16, v35
	v_or_b32_e32 v2, v40, v2
	s_and_b64 vcc, exec, s[10:11]
	v_and_b32_e32 v63, 0xffff0000, v2
	s_cbranch_vccnz .LBB4_57
; %bb.56:                               ;   in Loop: Header=BB4_34 Depth=1
	s_load_dword s28, s[16:17], 0x0
	s_waitcnt lgkmcnt(0)
	v_div_scale_f32 v35, s[12:13], s28, s28, v63
	v_rcp_f32_e32 v40, v35
	v_div_scale_f32 v65, vcc, v63, s28, v63
	v_fma_f32 v66, -v35, v40, 1.0
	v_fmac_f32_e32 v40, v66, v40
	v_mul_f32_e32 v66, v65, v40
	v_fma_f32 v67, -v35, v66, v65
	v_fmac_f32_e32 v66, v67, v40
	v_fma_f32 v35, -v35, v66, v65
	v_div_fmas_f32 v35, v35, v40, v66
	v_div_fixup_f32 v63, v35, s28, v63
.LBB4_57:                               ;   in Loop: Header=BB4_34 Depth=1
	v_and_b32_e32 v35, 0xffff, v61
	v_lshlrev_b32_e32 v40, 16, v62
	v_or3_b32 v35, v40, v35, v41
	s_and_b64 vcc, exec, s[10:11]
	v_or3_b32 v2, 0, 0, v2
	s_cbranch_vccnz .LBB4_59
; %bb.58:                               ;   in Loop: Header=BB4_34 Depth=1
	v_bfe_u32 v40, v63, 16, 1
	v_add3_u32 v40, v63, v40, s31
	v_and_b32_e32 v40, 0xffff0000, v40
	v_cmp_o_f32_e32 vcc, v63, v63
	v_cndmask_b32_e32 v40, v56, v40, vcc
	v_or_b32_sdwa v2, v40, v2 dst_sel:DWORD dst_unused:UNUSED_PAD src0_sel:DWORD src1_sel:WORD_0
.LBB4_59:                               ;   in Loop: Header=BB4_34 Depth=1
	v_alignbit_b32 v40, v35, v2, 16
	s_and_b64 vcc, exec, s[10:11]
	v_and_b32_e32 v62, 0xffff0000, v40
	s_cbranch_vccnz .LBB4_61
; %bb.60:                               ;   in Loop: Header=BB4_34 Depth=1
	s_load_dword s28, s[16:17], 0x0
	s_waitcnt lgkmcnt(0)
	v_div_scale_f32 v40, s[12:13], s28, s28, v62
	v_rcp_f32_e32 v41, v40
	v_div_scale_f32 v61, vcc, v62, s28, v62
	v_fma_f32 v65, -v40, v41, 1.0
	v_fmac_f32_e32 v41, v65, v41
	v_mul_f32_e32 v65, v61, v41
	v_fma_f32 v66, -v40, v65, v61
	v_fmac_f32_e32 v65, v66, v41
	v_fma_f32 v40, -v40, v65, v61
	v_div_fmas_f32 v40, v40, v41, v65
	v_div_fixup_f32 v62, v40, s28, v62
.LBB4_61:                               ;   in Loop: Header=BB4_34 Depth=1
	s_and_b64 vcc, exec, s[10:11]
	s_cbranch_vccnz .LBB4_63
; %bb.62:                               ;   in Loop: Header=BB4_34 Depth=1
	v_bfe_u32 v40, v62, 16, 1
	v_add3_u32 v40, v62, v40, s31
	v_lshrrev_b32_e32 v40, 16, v40
	v_cmp_o_f32_e32 vcc, v62, v62
	v_cndmask_b32_e32 v40, v55, v40, vcc
	v_and_b32_e32 v35, 0xffff0000, v35
	v_or_b32_e32 v35, v40, v35
.LBB4_63:                               ;   in Loop: Header=BB4_34 Depth=1
	s_and_b64 vcc, exec, s[10:11]
	v_and_b32_e32 v61, 0xffff0000, v35
	s_cbranch_vccnz .LBB4_65
; %bb.64:                               ;   in Loop: Header=BB4_34 Depth=1
	s_load_dword s28, s[16:17], 0x0
	s_waitcnt lgkmcnt(0)
	v_div_scale_f32 v40, s[12:13], s28, s28, v61
	v_rcp_f32_e32 v41, v40
	v_div_scale_f32 v65, vcc, v61, s28, v61
	v_fma_f32 v66, -v40, v41, 1.0
	v_fmac_f32_e32 v41, v66, v41
	v_mul_f32_e32 v66, v65, v41
	v_fma_f32 v67, -v40, v66, v65
	v_fmac_f32_e32 v66, v67, v41
	v_fma_f32 v40, -v40, v66, v65
	v_div_fmas_f32 v40, v40, v41, v66
	v_div_fixup_f32 v61, v40, s28, v61
.LBB4_65:                               ;   in Loop: Header=BB4_34 Depth=1
	s_and_b64 vcc, exec, s[10:11]
	s_cbranch_vccnz .LBB4_67
; %bb.66:                               ;   in Loop: Header=BB4_34 Depth=1
	v_bfe_u32 v40, v61, 16, 1
	v_add3_u32 v40, v61, v40, s31
	v_and_b32_e32 v40, 0xffff0000, v40
	v_cmp_o_f32_e32 vcc, v61, v61
	v_cndmask_b32_e32 v40, v56, v40, vcc
	v_and_b32_e32 v35, 0xffff, v35
	v_or_b32_e32 v35, v40, v35
.LBB4_67:                               ;   in Loop: Header=BB4_34 Depth=1
	v_lshlrev_b32_e32 v41, 16, v38
	v_lshlrev_b32_e32 v65, 16, v60
	v_cndmask_b32_e64 v60, v64, -v64, s[18:19]
	v_fma_f32 v64, v44, v41, v60
	v_cndmask_b32_e64 v64, v60, v64, s[0:1]
	v_lshlrev_b32_e32 v40, 16, v36
	v_fma_f32 v60, -v42, v64, v64
	v_fmac_f32_e32 v60, v42, v40
	v_mul_f32_e32 v40, v64, v64
	v_fma_f32 v40, -v43, v40, v40
	v_fmac_f32_e32 v40, v43, v65
	s_and_saveexec_b64 s[28:29], s[2:3]
	s_cbranch_execz .LBB4_69
; %bb.68:                               ;   in Loop: Header=BB4_34 Depth=1
	v_mul_f32_e32 v64, 0x4f800000, v40
	v_cmp_gt_f32_e32 vcc, s34, v40
	v_cndmask_b32_e32 v64, v40, v64, vcc
	v_sqrt_f32_e32 v65, v64
	v_add_u32_e32 v66, -1, v65
	v_fma_f32 v68, -v66, v65, v64
	v_add_u32_e32 v67, 1, v65
	v_cmp_ge_f32_e64 s[12:13], 0, v68
	v_cndmask_b32_e64 v66, v65, v66, s[12:13]
	v_fma_f32 v65, -v67, v65, v64
	v_cmp_lt_f32_e64 s[12:13], 0, v65
	v_cndmask_b32_e64 v65, v66, v67, s[12:13]
	v_mul_f32_e32 v66, 0x37800000, v65
	v_cndmask_b32_e32 v65, v65, v66, vcc
	v_cmp_class_f32_e32 vcc, v64, v54
	v_cndmask_b32_e32 v64, v65, v64, vcc
	v_div_scale_f32 v65, s[12:13], v46, v46, v64
	v_rcp_f32_e32 v66, v65
	v_fma_f32 v67, -v65, v66, 1.0
	v_fmac_f32_e32 v66, v67, v66
	v_div_scale_f32 v67, vcc, v64, v46, v64
	v_mul_f32_e32 v68, v67, v66
	v_fma_f32 v69, -v65, v68, v67
	v_fmac_f32_e32 v68, v69, v66
	v_fma_f32 v65, -v65, v68, v67
	v_div_fmas_f32 v65, v65, v66, v68
	v_div_fixup_f32 v64, v65, v46, v64
	v_add_f32_e32 v64, v64, v45
	v_mul_f32_e32 v65, v47, v60
	v_div_scale_f32 v66, s[12:13], v64, v64, v65
	v_rcp_f32_e32 v67, v66
	v_fma_f32 v68, -v66, v67, 1.0
	v_fmac_f32_e32 v67, v68, v67
	v_div_scale_f32 v68, vcc, v65, v64, v65
	v_mul_f32_e32 v69, v68, v67
	v_fma_f32 v70, -v66, v69, v68
	v_fmac_f32_e32 v69, v70, v67
	v_fma_f32 v66, -v66, v69, v68
	v_div_fmas_f32 v66, v66, v67, v69
	v_div_fixup_f32 v64, v66, v64, v65
	v_sub_f32_e32 v41, v41, v64
	v_bfe_u32 v64, v41, 16, 1
	v_add3_u32 v64, v41, v64, s31
	v_lshrrev_b32_e32 v64, 16, v64
	v_cmp_o_f32_e32 vcc, v41, v41
	v_cndmask_b32_e32 v41, v55, v64, vcc
	v_mov_b32_e32 v65, s21
	v_add_co_u32_e32 v64, vcc, s20, v4
	v_addc_co_u32_e32 v65, vcc, v1, v65, vcc
	global_store_short v[64:65], v41, off
.LBB4_69:                               ;   in Loop: Header=BB4_34 Depth=1
	s_or_b64 exec, exec, s[28:29]
	v_and_b32_e32 v64, 0xffff0000, v38
	v_lshlrev_b32_e32 v65, 16, v59
	v_cndmask_b32_e64 v59, v63, -v63, s[18:19]
	v_fma_f32 v63, v44, v64, v59
	v_cndmask_b32_e64 v63, v59, v63, s[0:1]
	v_and_b32_e32 v41, 0xffff0000, v36
	v_fma_f32 v59, -v42, v63, v63
	v_fmac_f32_e32 v59, v42, v41
	v_mul_f32_e32 v41, v63, v63
	v_fma_f32 v41, -v43, v41, v41
	v_fmac_f32_e32 v41, v43, v65
	s_and_saveexec_b64 s[28:29], s[4:5]
	s_cbranch_execz .LBB4_71
; %bb.70:                               ;   in Loop: Header=BB4_34 Depth=1
	v_mul_f32_e32 v63, 0x4f800000, v41
	v_cmp_gt_f32_e32 vcc, s34, v41
	v_cndmask_b32_e32 v63, v41, v63, vcc
	v_sqrt_f32_e32 v65, v63
	v_add_u32_e32 v66, -1, v65
	v_fma_f32 v68, -v66, v65, v63
	v_add_u32_e32 v67, 1, v65
	v_cmp_ge_f32_e64 s[12:13], 0, v68
	v_cndmask_b32_e64 v66, v65, v66, s[12:13]
	v_fma_f32 v65, -v67, v65, v63
	v_cmp_lt_f32_e64 s[12:13], 0, v65
	v_cndmask_b32_e64 v65, v66, v67, s[12:13]
	v_mul_f32_e32 v66, 0x37800000, v65
	v_cndmask_b32_e32 v65, v65, v66, vcc
	v_cmp_class_f32_e32 vcc, v63, v54
	v_cndmask_b32_e32 v63, v65, v63, vcc
	v_div_scale_f32 v65, s[12:13], v46, v46, v63
	v_rcp_f32_e32 v66, v65
	v_fma_f32 v67, -v65, v66, 1.0
	v_fmac_f32_e32 v66, v67, v66
	v_div_scale_f32 v67, vcc, v63, v46, v63
	v_mul_f32_e32 v68, v67, v66
	v_fma_f32 v69, -v65, v68, v67
	v_fmac_f32_e32 v68, v69, v66
	v_fma_f32 v65, -v65, v68, v67
	v_div_fmas_f32 v65, v65, v66, v68
	v_div_fixup_f32 v63, v65, v46, v63
	v_add_f32_e32 v63, v63, v45
	v_mul_f32_e32 v65, v47, v59
	v_div_scale_f32 v66, s[12:13], v63, v63, v65
	v_rcp_f32_e32 v67, v66
	v_fma_f32 v68, -v66, v67, 1.0
	v_fmac_f32_e32 v67, v68, v67
	v_div_scale_f32 v68, vcc, v65, v63, v65
	v_mul_f32_e32 v69, v68, v67
	v_fma_f32 v70, -v66, v69, v68
	v_fmac_f32_e32 v69, v70, v67
	v_fma_f32 v66, -v66, v69, v68
	v_div_fmas_f32 v66, v66, v67, v69
	v_div_fixup_f32 v63, v66, v63, v65
	v_sub_f32_e32 v63, v64, v63
	v_bfe_u32 v64, v63, 16, 1
	v_add3_u32 v64, v63, v64, s31
	v_lshrrev_b32_e32 v64, 16, v64
	v_cmp_o_f32_e32 vcc, v63, v63
	v_cndmask_b32_e32 v63, v55, v64, vcc
	v_mov_b32_e32 v65, s21
	v_add_co_u32_e32 v64, vcc, s20, v24
	v_addc_co_u32_e32 v65, vcc, v23, v65, vcc
	global_store_short v[64:65], v63, off
.LBB4_71:                               ;   in Loop: Header=BB4_34 Depth=1
	s_or_b64 exec, exec, s[28:29]
	v_alignbit_b32 v38, v39, v38, 16
	v_and_b32_e32 v63, 0xffff0000, v38
	v_cndmask_b32_e64 v38, v62, -v62, s[18:19]
	v_fma_f32 v62, v44, v63, v38
	v_alignbit_b32 v36, v37, v36, 16
	v_cndmask_b32_e64 v62, v38, v62, s[0:1]
	v_and_b32_e32 v36, 0xffff0000, v36
	v_fma_f32 v38, -v42, v62, v62
	v_fmac_f32_e32 v38, v42, v36
	v_mul_f32_e32 v36, v62, v62
	v_lshlrev_b32_e32 v58, 16, v58
	v_fma_f32 v36, -v43, v36, v36
	v_fmac_f32_e32 v36, v43, v58
	s_and_saveexec_b64 s[28:29], s[6:7]
	s_cbranch_execz .LBB4_73
; %bb.72:                               ;   in Loop: Header=BB4_34 Depth=1
	v_mul_f32_e32 v58, 0x4f800000, v36
	v_cmp_gt_f32_e32 vcc, s34, v36
	v_cndmask_b32_e32 v58, v36, v58, vcc
	v_sqrt_f32_e32 v62, v58
	v_add_u32_e32 v64, -1, v62
	v_fma_f32 v66, -v64, v62, v58
	v_add_u32_e32 v65, 1, v62
	v_cmp_ge_f32_e64 s[12:13], 0, v66
	v_cndmask_b32_e64 v64, v62, v64, s[12:13]
	v_fma_f32 v62, -v65, v62, v58
	v_cmp_lt_f32_e64 s[12:13], 0, v62
	v_cndmask_b32_e64 v62, v64, v65, s[12:13]
	v_mul_f32_e32 v64, 0x37800000, v62
	v_cndmask_b32_e32 v62, v62, v64, vcc
	v_cmp_class_f32_e32 vcc, v58, v54
	v_cndmask_b32_e32 v58, v62, v58, vcc
	v_div_scale_f32 v62, s[12:13], v46, v46, v58
	v_rcp_f32_e32 v64, v62
	v_fma_f32 v65, -v62, v64, 1.0
	v_fmac_f32_e32 v64, v65, v64
	v_div_scale_f32 v65, vcc, v58, v46, v58
	v_mul_f32_e32 v66, v65, v64
	v_fma_f32 v67, -v62, v66, v65
	v_fmac_f32_e32 v66, v67, v64
	v_fma_f32 v62, -v62, v66, v65
	v_div_fmas_f32 v62, v62, v64, v66
	v_div_fixup_f32 v58, v62, v46, v58
	v_add_f32_e32 v58, v58, v45
	v_mul_f32_e32 v62, v47, v38
	v_div_scale_f32 v64, s[12:13], v58, v58, v62
	v_rcp_f32_e32 v65, v64
	v_fma_f32 v66, -v64, v65, 1.0
	v_fmac_f32_e32 v65, v66, v65
	v_div_scale_f32 v66, vcc, v62, v58, v62
	v_mul_f32_e32 v67, v66, v65
	v_fma_f32 v68, -v64, v67, v66
	v_fmac_f32_e32 v67, v68, v65
	v_fma_f32 v64, -v64, v67, v66
	v_div_fmas_f32 v64, v64, v65, v67
	v_div_fixup_f32 v58, v64, v58, v62
	v_sub_f32_e32 v58, v63, v58
	v_bfe_u32 v62, v58, 16, 1
	v_add3_u32 v62, v58, v62, s31
	v_lshrrev_b32_e32 v62, 16, v62
	v_cmp_o_f32_e32 vcc, v58, v58
	v_cndmask_b32_e32 v58, v55, v62, vcc
	v_mov_b32_e32 v63, s21
	v_add_co_u32_e32 v62, vcc, s20, v16
	v_addc_co_u32_e32 v63, vcc, v15, v63, vcc
	global_store_short v[62:63], v58, off
.LBB4_73:                               ;   in Loop: Header=BB4_34 Depth=1
	s_or_b64 exec, exec, s[28:29]
	v_and_b32_e32 v58, 0xffff0000, v39
	v_cndmask_b32_e64 v39, v61, -v61, s[18:19]
	v_fma_f32 v61, v44, v58, v39
	v_cndmask_b32_e64 v61, v39, v61, s[0:1]
	v_and_b32_e32 v37, 0xffff0000, v37
	v_fma_f32 v39, -v42, v61, v61
	v_fmac_f32_e32 v39, v42, v37
	v_mul_f32_e32 v37, v61, v61
	v_lshlrev_b32_e32 v57, 16, v57
	v_fma_f32 v37, -v43, v37, v37
	v_fmac_f32_e32 v37, v43, v57
	s_and_saveexec_b64 s[28:29], s[8:9]
	s_cbranch_execz .LBB4_75
; %bb.74:                               ;   in Loop: Header=BB4_34 Depth=1
	v_mul_f32_e32 v57, 0x4f800000, v37
	v_cmp_gt_f32_e32 vcc, s34, v37
	v_cndmask_b32_e32 v57, v37, v57, vcc
	v_sqrt_f32_e32 v61, v57
	v_add_u32_e32 v62, -1, v61
	v_fma_f32 v64, -v62, v61, v57
	v_add_u32_e32 v63, 1, v61
	v_cmp_ge_f32_e64 s[12:13], 0, v64
	v_cndmask_b32_e64 v62, v61, v62, s[12:13]
	v_fma_f32 v61, -v63, v61, v57
	v_cmp_lt_f32_e64 s[12:13], 0, v61
	v_cndmask_b32_e64 v61, v62, v63, s[12:13]
	v_mul_f32_e32 v62, 0x37800000, v61
	v_cndmask_b32_e32 v61, v61, v62, vcc
	v_cmp_class_f32_e32 vcc, v57, v54
	v_cndmask_b32_e32 v57, v61, v57, vcc
	v_div_scale_f32 v61, s[12:13], v46, v46, v57
	v_rcp_f32_e32 v62, v61
	v_fma_f32 v63, -v61, v62, 1.0
	v_fmac_f32_e32 v62, v63, v62
	v_div_scale_f32 v63, vcc, v57, v46, v57
	v_mul_f32_e32 v64, v63, v62
	v_fma_f32 v65, -v61, v64, v63
	v_fmac_f32_e32 v64, v65, v62
	v_fma_f32 v61, -v61, v64, v63
	v_div_fmas_f32 v61, v61, v62, v64
	v_div_fixup_f32 v57, v61, v46, v57
	v_add_f32_e32 v57, v57, v45
	v_mul_f32_e32 v61, v47, v39
	v_div_scale_f32 v62, s[12:13], v57, v57, v61
	v_rcp_f32_e32 v63, v62
	v_fma_f32 v64, -v62, v63, 1.0
	v_fmac_f32_e32 v63, v64, v63
	v_div_scale_f32 v64, vcc, v61, v57, v61
	v_mul_f32_e32 v65, v64, v63
	v_fma_f32 v66, -v62, v65, v64
	v_fmac_f32_e32 v65, v66, v63
	v_fma_f32 v62, -v62, v65, v64
	v_div_fmas_f32 v62, v62, v63, v65
	v_div_fixup_f32 v57, v62, v57, v61
	v_sub_f32_e32 v57, v58, v57
	v_bfe_u32 v58, v57, 16, 1
	v_add3_u32 v58, v57, v58, s31
	v_lshrrev_b32_e32 v58, 16, v58
	v_cmp_o_f32_e32 vcc, v57, v57
	v_cndmask_b32_e32 v57, v55, v58, vcc
	v_mov_b32_e32 v58, s21
	v_add_co_u32_e32 v62, vcc, s20, v8
	v_addc_co_u32_e32 v63, vcc, v7, v58, vcc
	global_store_short v[62:63], v57, off
.LBB4_75:                               ;   in Loop: Header=BB4_34 Depth=1
	s_or_b64 exec, exec, s[28:29]
	s_and_b64 vcc, exec, s[10:11]
	s_cbranch_vccnz .LBB4_82
; %bb.76:                               ;   in Loop: Header=BB4_34 Depth=1
	s_and_saveexec_b64 s[10:11], s[2:3]
	s_cbranch_execnz .LBB4_98
; %bb.77:                               ;   in Loop: Header=BB4_34 Depth=1
	s_or_b64 exec, exec, s[10:11]
	s_and_saveexec_b64 s[10:11], s[4:5]
	s_cbranch_execnz .LBB4_99
.LBB4_78:                               ;   in Loop: Header=BB4_34 Depth=1
	s_or_b64 exec, exec, s[10:11]
	s_and_saveexec_b64 s[10:11], s[6:7]
	s_cbranch_execnz .LBB4_100
.LBB4_79:                               ;   in Loop: Header=BB4_34 Depth=1
	s_or_b64 exec, exec, s[10:11]
	s_and_saveexec_b64 s[10:11], s[8:9]
	s_cbranch_execz .LBB4_81
.LBB4_80:                               ;   in Loop: Header=BB4_34 Depth=1
	v_mov_b32_e32 v2, s21
	v_add_co_u32_e32 v62, vcc, s20, v10
	v_addc_co_u32_e32 v63, vcc, v9, v2, vcc
	global_store_short_d16_hi v[62:63], v35, off
.LBB4_81:                               ;   in Loop: Header=BB4_34 Depth=1
	s_or_b64 exec, exec, s[10:11]
.LBB4_82:                               ;   in Loop: Header=BB4_34 Depth=1
	s_and_saveexec_b64 s[10:11], s[2:3]
	s_cbranch_execnz .LBB4_90
; %bb.83:                               ;   in Loop: Header=BB4_34 Depth=1
	s_or_b64 exec, exec, s[10:11]
	s_and_saveexec_b64 s[10:11], s[4:5]
	s_cbranch_execnz .LBB4_91
.LBB4_84:                               ;   in Loop: Header=BB4_34 Depth=1
	s_or_b64 exec, exec, s[10:11]
	s_and_saveexec_b64 s[10:11], s[6:7]
	s_cbranch_execnz .LBB4_92
.LBB4_85:                               ;   in Loop: Header=BB4_34 Depth=1
	s_or_b64 exec, exec, s[10:11]
	s_and_saveexec_b64 s[10:11], s[8:9]
	s_cbranch_execnz .LBB4_93
.LBB4_86:                               ;   in Loop: Header=BB4_34 Depth=1
	s_or_b64 exec, exec, s[10:11]
	s_and_saveexec_b64 s[10:11], s[2:3]
	s_cbranch_execnz .LBB4_94
.LBB4_87:                               ;   in Loop: Header=BB4_34 Depth=1
	s_or_b64 exec, exec, s[10:11]
	s_and_saveexec_b64 s[2:3], s[4:5]
	s_cbranch_execnz .LBB4_95
.LBB4_88:                               ;   in Loop: Header=BB4_34 Depth=1
	s_or_b64 exec, exec, s[2:3]
	s_and_saveexec_b64 s[2:3], s[6:7]
	s_cbranch_execnz .LBB4_96
.LBB4_89:                               ;   in Loop: Header=BB4_34 Depth=1
	s_or_b64 exec, exec, s[2:3]
	s_and_saveexec_b64 s[2:3], s[8:9]
	s_cbranch_execz .LBB4_33
	s_branch .LBB4_97
.LBB4_90:                               ;   in Loop: Header=BB4_34 Depth=1
	v_bfe_u32 v2, v60, 16, 1
	v_add3_u32 v2, v60, v2, s31
	v_lshrrev_b32_e32 v2, 16, v2
	v_cmp_o_f32_e32 vcc, v60, v60
	v_cndmask_b32_e32 v2, v55, v2, vcc
	v_mov_b32_e32 v35, s21
	v_add_co_u32_e32 v60, vcc, s20, v28
	v_addc_co_u32_e32 v61, vcc, v27, v35, vcc
	global_store_short v[60:61], v2, off
	s_or_b64 exec, exec, s[10:11]
	s_and_saveexec_b64 s[10:11], s[4:5]
	s_cbranch_execz .LBB4_84
.LBB4_91:                               ;   in Loop: Header=BB4_34 Depth=1
	v_bfe_u32 v2, v59, 16, 1
	v_add3_u32 v2, v59, v2, s31
	v_lshrrev_b32_e32 v2, 16, v2
	v_cmp_o_f32_e32 vcc, v59, v59
	v_cndmask_b32_e32 v2, v55, v2, vcc
	v_mov_b32_e32 v35, s21
	v_add_co_u32_e32 v58, vcc, s20, v30
	v_addc_co_u32_e32 v59, vcc, v29, v35, vcc
	global_store_short v[58:59], v2, off
	s_or_b64 exec, exec, s[10:11]
	s_and_saveexec_b64 s[10:11], s[6:7]
	s_cbranch_execz .LBB4_85
.LBB4_92:                               ;   in Loop: Header=BB4_34 Depth=1
	v_bfe_u32 v2, v38, 16, 1
	v_add3_u32 v2, v38, v2, s31
	v_lshrrev_b32_e32 v2, 16, v2
	v_cmp_o_f32_e32 vcc, v38, v38
	v_cndmask_b32_e32 v2, v55, v2, vcc
	v_mov_b32_e32 v35, s21
	v_add_co_u32_e32 v58, vcc, s20, v20
	v_addc_co_u32_e32 v59, vcc, v19, v35, vcc
	global_store_short v[58:59], v2, off
	s_or_b64 exec, exec, s[10:11]
	s_and_saveexec_b64 s[10:11], s[8:9]
	s_cbranch_execz .LBB4_86
.LBB4_93:                               ;   in Loop: Header=BB4_34 Depth=1
	v_bfe_u32 v2, v39, 16, 1
	v_add3_u32 v2, v39, v2, s31
	v_lshrrev_b32_e32 v2, 16, v2
	v_cmp_o_f32_e32 vcc, v39, v39
	v_cndmask_b32_e32 v2, v55, v2, vcc
	v_mov_b32_e32 v35, s21
	v_add_co_u32_e32 v38, vcc, s20, v12
	v_addc_co_u32_e32 v39, vcc, v11, v35, vcc
	global_store_short v[38:39], v2, off
	s_or_b64 exec, exec, s[10:11]
	s_and_saveexec_b64 s[10:11], s[2:3]
	s_cbranch_execz .LBB4_87
.LBB4_94:                               ;   in Loop: Header=BB4_34 Depth=1
	v_bfe_u32 v2, v40, 16, 1
	v_add3_u32 v2, v40, v2, s31
	v_lshrrev_b32_e32 v2, 16, v2
	v_cmp_o_f32_e32 vcc, v40, v40
	v_cndmask_b32_e32 v2, v55, v2, vcc
	v_mov_b32_e32 v35, s21
	v_add_co_u32_e32 v38, vcc, s20, v34
	v_addc_co_u32_e32 v39, vcc, v31, v35, vcc
	global_store_short v[38:39], v2, off
	s_or_b64 exec, exec, s[10:11]
	s_and_saveexec_b64 s[2:3], s[4:5]
	s_cbranch_execz .LBB4_88
.LBB4_95:                               ;   in Loop: Header=BB4_34 Depth=1
	v_bfe_u32 v2, v41, 16, 1
	v_add3_u32 v2, v41, v2, s31
	v_lshrrev_b32_e32 v2, 16, v2
	v_cmp_o_f32_e32 vcc, v41, v41
	v_cndmask_b32_e32 v2, v55, v2, vcc
	v_mov_b32_e32 v35, s21
	v_add_co_u32_e32 v38, vcc, s20, v32
	v_addc_co_u32_e32 v39, vcc, v33, v35, vcc
	global_store_short v[38:39], v2, off
	s_or_b64 exec, exec, s[2:3]
	s_and_saveexec_b64 s[2:3], s[6:7]
	s_cbranch_execz .LBB4_89
.LBB4_96:                               ;   in Loop: Header=BB4_34 Depth=1
	v_bfe_u32 v2, v36, 16, 1
	v_add3_u32 v2, v36, v2, s31
	v_lshrrev_b32_e32 v2, 16, v2
	v_cmp_o_f32_e32 vcc, v36, v36
	v_cndmask_b32_e32 v2, v55, v2, vcc
	v_mov_b32_e32 v35, s21
	v_add_co_u32_e32 v38, vcc, s20, v22
	v_addc_co_u32_e32 v39, vcc, v21, v35, vcc
	global_store_short v[38:39], v2, off
	s_or_b64 exec, exec, s[2:3]
	s_and_saveexec_b64 s[2:3], s[8:9]
	s_cbranch_execz .LBB4_33
.LBB4_97:                               ;   in Loop: Header=BB4_34 Depth=1
	v_bfe_u32 v2, v37, 16, 1
	v_add3_u32 v2, v37, v2, s31
	v_lshrrev_b32_e32 v2, 16, v2
	v_cmp_o_f32_e32 vcc, v37, v37
	v_cndmask_b32_e32 v2, v55, v2, vcc
	v_mov_b32_e32 v35, s21
	v_add_co_u32_e32 v36, vcc, s20, v14
	v_addc_co_u32_e32 v37, vcc, v13, v35, vcc
	global_store_short v[36:37], v2, off
	s_branch .LBB4_33
.LBB4_98:                               ;   in Loop: Header=BB4_34 Depth=1
	v_mov_b32_e32 v57, s21
	v_add_co_u32_e32 v62, vcc, s20, v6
	v_addc_co_u32_e32 v63, vcc, v5, v57, vcc
	global_store_short v[62:63], v2, off
	s_or_b64 exec, exec, s[10:11]
	s_and_saveexec_b64 s[10:11], s[4:5]
	s_cbranch_execz .LBB4_78
.LBB4_99:                               ;   in Loop: Header=BB4_34 Depth=1
	v_mov_b32_e32 v57, s21
	v_add_co_u32_e32 v62, vcc, s20, v26
	v_addc_co_u32_e32 v63, vcc, v25, v57, vcc
	global_store_short_d16_hi v[62:63], v2, off
	s_or_b64 exec, exec, s[10:11]
	s_and_saveexec_b64 s[10:11], s[6:7]
	s_cbranch_execz .LBB4_79
.LBB4_100:                              ;   in Loop: Header=BB4_34 Depth=1
	v_mov_b32_e32 v2, s21
	v_add_co_u32_e32 v62, vcc, s20, v18
	v_addc_co_u32_e32 v63, vcc, v17, v2, vcc
	global_store_short v[62:63], v35, off
	s_or_b64 exec, exec, s[10:11]
	s_and_saveexec_b64 s[10:11], s[8:9]
	s_cbranch_execnz .LBB4_80
	s_branch .LBB4_81
.LBB4_101:
	s_endpgm
	.section	.rodata,"a",@progbits
	.p2align	6, 0x0
	.amdhsa_kernel _ZN2at6native12_GLOBAL__N_125multi_tensor_apply_kernelINS1_32FusedOptimizerTensorListMetadataILi4EEENS1_20FusedAdamMathFunctorIN3c108BFloat16ELi4ELNS0_9ADAM_MODEE0ELb0EEEJPKfdddddbSB_SB_EEEvT_T0_DpT1_
		.amdhsa_group_segment_fixed_size 0
		.amdhsa_private_segment_fixed_size 0
		.amdhsa_kernarg_size 3672
		.amdhsa_user_sgpr_count 6
		.amdhsa_user_sgpr_private_segment_buffer 1
		.amdhsa_user_sgpr_dispatch_ptr 0
		.amdhsa_user_sgpr_queue_ptr 0
		.amdhsa_user_sgpr_kernarg_segment_ptr 1
		.amdhsa_user_sgpr_dispatch_id 0
		.amdhsa_user_sgpr_flat_scratch_init 0
		.amdhsa_user_sgpr_kernarg_preload_length 0
		.amdhsa_user_sgpr_kernarg_preload_offset 0
		.amdhsa_user_sgpr_private_segment_size 0
		.amdhsa_uses_dynamic_stack 0
		.amdhsa_system_sgpr_private_segment_wavefront_offset 0
		.amdhsa_system_sgpr_workgroup_id_x 1
		.amdhsa_system_sgpr_workgroup_id_y 0
		.amdhsa_system_sgpr_workgroup_id_z 0
		.amdhsa_system_sgpr_workgroup_info 0
		.amdhsa_system_vgpr_workitem_id 0
		.amdhsa_next_free_vgpr 71
		.amdhsa_next_free_sgpr 37
		.amdhsa_accum_offset 72
		.amdhsa_reserve_vcc 1
		.amdhsa_reserve_flat_scratch 0
		.amdhsa_float_round_mode_32 0
		.amdhsa_float_round_mode_16_64 0
		.amdhsa_float_denorm_mode_32 3
		.amdhsa_float_denorm_mode_16_64 3
		.amdhsa_dx10_clamp 1
		.amdhsa_ieee_mode 1
		.amdhsa_fp16_overflow 0
		.amdhsa_tg_split 0
		.amdhsa_exception_fp_ieee_invalid_op 0
		.amdhsa_exception_fp_denorm_src 0
		.amdhsa_exception_fp_ieee_div_zero 0
		.amdhsa_exception_fp_ieee_overflow 0
		.amdhsa_exception_fp_ieee_underflow 0
		.amdhsa_exception_fp_ieee_inexact 0
		.amdhsa_exception_int_div_zero 0
	.end_amdhsa_kernel
	.section	.text._ZN2at6native12_GLOBAL__N_125multi_tensor_apply_kernelINS1_32FusedOptimizerTensorListMetadataILi4EEENS1_20FusedAdamMathFunctorIN3c108BFloat16ELi4ELNS0_9ADAM_MODEE0ELb0EEEJPKfdddddbSB_SB_EEEvT_T0_DpT1_,"axG",@progbits,_ZN2at6native12_GLOBAL__N_125multi_tensor_apply_kernelINS1_32FusedOptimizerTensorListMetadataILi4EEENS1_20FusedAdamMathFunctorIN3c108BFloat16ELi4ELNS0_9ADAM_MODEE0ELb0EEEJPKfdddddbSB_SB_EEEvT_T0_DpT1_,comdat
.Lfunc_end4:
	.size	_ZN2at6native12_GLOBAL__N_125multi_tensor_apply_kernelINS1_32FusedOptimizerTensorListMetadataILi4EEENS1_20FusedAdamMathFunctorIN3c108BFloat16ELi4ELNS0_9ADAM_MODEE0ELb0EEEJPKfdddddbSB_SB_EEEvT_T0_DpT1_, .Lfunc_end4-_ZN2at6native12_GLOBAL__N_125multi_tensor_apply_kernelINS1_32FusedOptimizerTensorListMetadataILi4EEENS1_20FusedAdamMathFunctorIN3c108BFloat16ELi4ELNS0_9ADAM_MODEE0ELb0EEEJPKfdddddbSB_SB_EEEvT_T0_DpT1_
                                        ; -- End function
	.section	.AMDGPU.csdata,"",@progbits
; Kernel info:
; codeLenInByte = 9628
; NumSgprs: 41
; NumVgprs: 71
; NumAgprs: 0
; TotalNumVgprs: 71
; ScratchSize: 0
; MemoryBound: 0
; FloatMode: 240
; IeeeMode: 1
; LDSByteSize: 0 bytes/workgroup (compile time only)
; SGPRBlocks: 5
; VGPRBlocks: 8
; NumSGPRsForWavesPerEU: 41
; NumVGPRsForWavesPerEU: 71
; AccumOffset: 72
; Occupancy: 7
; WaveLimiterHint : 0
; COMPUTE_PGM_RSRC2:SCRATCH_EN: 0
; COMPUTE_PGM_RSRC2:USER_SGPR: 6
; COMPUTE_PGM_RSRC2:TRAP_HANDLER: 0
; COMPUTE_PGM_RSRC2:TGID_X_EN: 1
; COMPUTE_PGM_RSRC2:TGID_Y_EN: 0
; COMPUTE_PGM_RSRC2:TGID_Z_EN: 0
; COMPUTE_PGM_RSRC2:TIDIG_COMP_CNT: 0
; COMPUTE_PGM_RSRC3_GFX90A:ACCUM_OFFSET: 17
; COMPUTE_PGM_RSRC3_GFX90A:TG_SPLIT: 0
	.text
	.p2alignl 6, 3212836864
	.fill 256, 4, 3212836864
	.type	__hip_cuid_b987dd3095110899,@object ; @__hip_cuid_b987dd3095110899
	.section	.bss,"aw",@nobits
	.globl	__hip_cuid_b987dd3095110899
__hip_cuid_b987dd3095110899:
	.byte	0                               ; 0x0
	.size	__hip_cuid_b987dd3095110899, 1

	.ident	"AMD clang version 19.0.0git (https://github.com/RadeonOpenCompute/llvm-project roc-6.4.0 25133 c7fe45cf4b819c5991fe208aaa96edf142730f1d)"
	.section	".note.GNU-stack","",@progbits
	.addrsig
	.addrsig_sym __hip_cuid_b987dd3095110899
	.amdgpu_metadata
---
amdhsa.kernels:
  - .agpr_count:     0
    .args:
      - .offset:         0
        .size:           3336
        .value_kind:     by_value
      - .offset:         3336
        .size:           1
        .value_kind:     by_value
      - .address_space:  global
        .offset:         3344
        .size:           8
        .value_kind:     global_buffer
      - .offset:         3352
        .size:           8
        .value_kind:     by_value
      - .offset:         3360
        .size:           8
        .value_kind:     by_value
      - .offset:         3368
        .size:           8
        .value_kind:     by_value
      - .offset:         3376
        .size:           8
        .value_kind:     by_value
      - .offset:         3384
        .size:           8
        .value_kind:     by_value
      - .offset:         3392
        .size:           1
        .value_kind:     by_value
      - .address_space:  global
        .offset:         3400
        .size:           8
        .value_kind:     global_buffer
      - .address_space:  global
        .offset:         3408
        .size:           8
        .value_kind:     global_buffer
      - .offset:         3416
        .size:           4
        .value_kind:     hidden_block_count_x
      - .offset:         3420
        .size:           4
        .value_kind:     hidden_block_count_y
      - .offset:         3424
        .size:           4
        .value_kind:     hidden_block_count_z
      - .offset:         3428
        .size:           2
        .value_kind:     hidden_group_size_x
      - .offset:         3430
        .size:           2
        .value_kind:     hidden_group_size_y
      - .offset:         3432
        .size:           2
        .value_kind:     hidden_group_size_z
      - .offset:         3434
        .size:           2
        .value_kind:     hidden_remainder_x
      - .offset:         3436
        .size:           2
        .value_kind:     hidden_remainder_y
      - .offset:         3438
        .size:           2
        .value_kind:     hidden_remainder_z
      - .offset:         3456
        .size:           8
        .value_kind:     hidden_global_offset_x
      - .offset:         3464
        .size:           8
        .value_kind:     hidden_global_offset_y
      - .offset:         3472
        .size:           8
        .value_kind:     hidden_global_offset_z
      - .offset:         3480
        .size:           2
        .value_kind:     hidden_grid_dims
    .group_segment_fixed_size: 0
    .kernarg_segment_align: 8
    .kernarg_segment_size: 3672
    .language:       OpenCL C
    .language_version:
      - 2
      - 0
    .max_flat_workgroup_size: 512
    .name:           _ZN2at6native12_GLOBAL__N_125multi_tensor_apply_kernelINS1_32FusedOptimizerTensorListMetadataILi4EEENS1_22FusedAdamMathFunctorMPIfffN3c108BFloat16ES7_fLi4ELNS0_9ADAM_MODEE0ELb0EEEJPKfdddddbSB_SB_EEEvT_T0_DpT1_
    .private_segment_fixed_size: 0
    .sgpr_count:     100
    .sgpr_spill_count: 16
    .symbol:         _ZN2at6native12_GLOBAL__N_125multi_tensor_apply_kernelINS1_32FusedOptimizerTensorListMetadataILi4EEENS1_22FusedAdamMathFunctorMPIfffN3c108BFloat16ES7_fLi4ELNS0_9ADAM_MODEE0ELb0EEEJPKfdddddbSB_SB_EEEvT_T0_DpT1_.kd
    .uniform_work_group_size: 1
    .uses_dynamic_stack: false
    .vgpr_count:     77
    .vgpr_spill_count: 0
    .wavefront_size: 64
  - .agpr_count:     0
    .args:
      - .offset:         0
        .size:           3336
        .value_kind:     by_value
      - .offset:         3336
        .size:           1
        .value_kind:     by_value
      - .address_space:  global
        .offset:         3344
        .size:           8
        .value_kind:     global_buffer
      - .offset:         3352
        .size:           8
        .value_kind:     by_value
      - .offset:         3360
        .size:           8
        .value_kind:     by_value
      - .offset:         3368
        .size:           8
        .value_kind:     by_value
      - .offset:         3376
        .size:           8
        .value_kind:     by_value
      - .offset:         3384
        .size:           8
        .value_kind:     by_value
      - .offset:         3392
        .size:           1
        .value_kind:     by_value
      - .address_space:  global
        .offset:         3400
        .size:           8
        .value_kind:     global_buffer
      - .address_space:  global
        .offset:         3408
        .size:           8
        .value_kind:     global_buffer
      - .offset:         3416
        .size:           4
        .value_kind:     hidden_block_count_x
      - .offset:         3420
        .size:           4
        .value_kind:     hidden_block_count_y
      - .offset:         3424
        .size:           4
        .value_kind:     hidden_block_count_z
      - .offset:         3428
        .size:           2
        .value_kind:     hidden_group_size_x
      - .offset:         3430
        .size:           2
        .value_kind:     hidden_group_size_y
      - .offset:         3432
        .size:           2
        .value_kind:     hidden_group_size_z
      - .offset:         3434
        .size:           2
        .value_kind:     hidden_remainder_x
      - .offset:         3436
        .size:           2
        .value_kind:     hidden_remainder_y
      - .offset:         3438
        .size:           2
        .value_kind:     hidden_remainder_z
      - .offset:         3456
        .size:           8
        .value_kind:     hidden_global_offset_x
      - .offset:         3464
        .size:           8
        .value_kind:     hidden_global_offset_y
      - .offset:         3472
        .size:           8
        .value_kind:     hidden_global_offset_z
      - .offset:         3480
        .size:           2
        .value_kind:     hidden_grid_dims
    .group_segment_fixed_size: 0
    .kernarg_segment_align: 8
    .kernarg_segment_size: 3672
    .language:       OpenCL C
    .language_version:
      - 2
      - 0
    .max_flat_workgroup_size: 512
    .name:           _ZN2at6native12_GLOBAL__N_125multi_tensor_apply_kernelINS1_32FusedOptimizerTensorListMetadataILi4EEENS1_20FusedAdamMathFunctorIdLi4ELNS0_9ADAM_MODEE0ELb0EEEJPKfdddddbS9_S9_EEEvT_T0_DpT1_
    .private_segment_fixed_size: 0
    .sgpr_count:     99
    .sgpr_spill_count: 0
    .symbol:         _ZN2at6native12_GLOBAL__N_125multi_tensor_apply_kernelINS1_32FusedOptimizerTensorListMetadataILi4EEENS1_20FusedAdamMathFunctorIdLi4ELNS0_9ADAM_MODEE0ELb0EEEJPKfdddddbS9_S9_EEEvT_T0_DpT1_.kd
    .uniform_work_group_size: 1
    .uses_dynamic_stack: false
    .vgpr_count:     90
    .vgpr_spill_count: 0
    .wavefront_size: 64
  - .agpr_count:     0
    .args:
      - .offset:         0
        .size:           3336
        .value_kind:     by_value
      - .offset:         3336
        .size:           1
        .value_kind:     by_value
      - .address_space:  global
        .offset:         3344
        .size:           8
        .value_kind:     global_buffer
      - .offset:         3352
        .size:           8
        .value_kind:     by_value
      - .offset:         3360
        .size:           8
        .value_kind:     by_value
      - .offset:         3368
        .size:           8
        .value_kind:     by_value
      - .offset:         3376
        .size:           8
        .value_kind:     by_value
      - .offset:         3384
        .size:           8
        .value_kind:     by_value
      - .offset:         3392
        .size:           1
        .value_kind:     by_value
      - .address_space:  global
        .offset:         3400
        .size:           8
        .value_kind:     global_buffer
      - .address_space:  global
        .offset:         3408
        .size:           8
        .value_kind:     global_buffer
      - .offset:         3416
        .size:           4
        .value_kind:     hidden_block_count_x
      - .offset:         3420
        .size:           4
        .value_kind:     hidden_block_count_y
      - .offset:         3424
        .size:           4
        .value_kind:     hidden_block_count_z
      - .offset:         3428
        .size:           2
        .value_kind:     hidden_group_size_x
      - .offset:         3430
        .size:           2
        .value_kind:     hidden_group_size_y
      - .offset:         3432
        .size:           2
        .value_kind:     hidden_group_size_z
      - .offset:         3434
        .size:           2
        .value_kind:     hidden_remainder_x
      - .offset:         3436
        .size:           2
        .value_kind:     hidden_remainder_y
      - .offset:         3438
        .size:           2
        .value_kind:     hidden_remainder_z
      - .offset:         3456
        .size:           8
        .value_kind:     hidden_global_offset_x
      - .offset:         3464
        .size:           8
        .value_kind:     hidden_global_offset_y
      - .offset:         3472
        .size:           8
        .value_kind:     hidden_global_offset_z
      - .offset:         3480
        .size:           2
        .value_kind:     hidden_grid_dims
    .group_segment_fixed_size: 0
    .kernarg_segment_align: 8
    .kernarg_segment_size: 3672
    .language:       OpenCL C
    .language_version:
      - 2
      - 0
    .max_flat_workgroup_size: 512
    .name:           _ZN2at6native12_GLOBAL__N_125multi_tensor_apply_kernelINS1_32FusedOptimizerTensorListMetadataILi4EEENS1_20FusedAdamMathFunctorIfLi4ELNS0_9ADAM_MODEE0ELb0EEEJPKfdddddbS9_S9_EEEvT_T0_DpT1_
    .private_segment_fixed_size: 0
    .sgpr_count:     49
    .sgpr_spill_count: 0
    .symbol:         _ZN2at6native12_GLOBAL__N_125multi_tensor_apply_kernelINS1_32FusedOptimizerTensorListMetadataILi4EEENS1_20FusedAdamMathFunctorIfLi4ELNS0_9ADAM_MODEE0ELb0EEEJPKfdddddbS9_S9_EEEvT_T0_DpT1_.kd
    .uniform_work_group_size: 1
    .uses_dynamic_stack: false
    .vgpr_count:     70
    .vgpr_spill_count: 0
    .wavefront_size: 64
  - .agpr_count:     0
    .args:
      - .offset:         0
        .size:           3336
        .value_kind:     by_value
      - .offset:         3336
        .size:           1
        .value_kind:     by_value
      - .address_space:  global
        .offset:         3344
        .size:           8
        .value_kind:     global_buffer
      - .offset:         3352
        .size:           8
        .value_kind:     by_value
      - .offset:         3360
        .size:           8
        .value_kind:     by_value
      - .offset:         3368
        .size:           8
        .value_kind:     by_value
      - .offset:         3376
        .size:           8
        .value_kind:     by_value
      - .offset:         3384
        .size:           8
        .value_kind:     by_value
      - .offset:         3392
        .size:           1
        .value_kind:     by_value
      - .address_space:  global
        .offset:         3400
        .size:           8
        .value_kind:     global_buffer
      - .address_space:  global
        .offset:         3408
        .size:           8
        .value_kind:     global_buffer
      - .offset:         3416
        .size:           4
        .value_kind:     hidden_block_count_x
      - .offset:         3420
        .size:           4
        .value_kind:     hidden_block_count_y
      - .offset:         3424
        .size:           4
        .value_kind:     hidden_block_count_z
      - .offset:         3428
        .size:           2
        .value_kind:     hidden_group_size_x
      - .offset:         3430
        .size:           2
        .value_kind:     hidden_group_size_y
      - .offset:         3432
        .size:           2
        .value_kind:     hidden_group_size_z
      - .offset:         3434
        .size:           2
        .value_kind:     hidden_remainder_x
      - .offset:         3436
        .size:           2
        .value_kind:     hidden_remainder_y
      - .offset:         3438
        .size:           2
        .value_kind:     hidden_remainder_z
      - .offset:         3456
        .size:           8
        .value_kind:     hidden_global_offset_x
      - .offset:         3464
        .size:           8
        .value_kind:     hidden_global_offset_y
      - .offset:         3472
        .size:           8
        .value_kind:     hidden_global_offset_z
      - .offset:         3480
        .size:           2
        .value_kind:     hidden_grid_dims
    .group_segment_fixed_size: 0
    .kernarg_segment_align: 8
    .kernarg_segment_size: 3672
    .language:       OpenCL C
    .language_version:
      - 2
      - 0
    .max_flat_workgroup_size: 512
    .name:           _ZN2at6native12_GLOBAL__N_125multi_tensor_apply_kernelINS1_32FusedOptimizerTensorListMetadataILi4EEENS1_20FusedAdamMathFunctorIN3c104HalfELi4ELNS0_9ADAM_MODEE0ELb0EEEJPKfdddddbSB_SB_EEEvT_T0_DpT1_
    .private_segment_fixed_size: 0
    .sgpr_count:     49
    .sgpr_spill_count: 0
    .symbol:         _ZN2at6native12_GLOBAL__N_125multi_tensor_apply_kernelINS1_32FusedOptimizerTensorListMetadataILi4EEENS1_20FusedAdamMathFunctorIN3c104HalfELi4ELNS0_9ADAM_MODEE0ELb0EEEJPKfdddddbSB_SB_EEEvT_T0_DpT1_.kd
    .uniform_work_group_size: 1
    .uses_dynamic_stack: false
    .vgpr_count:     69
    .vgpr_spill_count: 0
    .wavefront_size: 64
  - .agpr_count:     0
    .args:
      - .offset:         0
        .size:           3336
        .value_kind:     by_value
      - .offset:         3336
        .size:           1
        .value_kind:     by_value
      - .address_space:  global
        .offset:         3344
        .size:           8
        .value_kind:     global_buffer
      - .offset:         3352
        .size:           8
        .value_kind:     by_value
      - .offset:         3360
        .size:           8
        .value_kind:     by_value
      - .offset:         3368
        .size:           8
        .value_kind:     by_value
      - .offset:         3376
        .size:           8
        .value_kind:     by_value
      - .offset:         3384
        .size:           8
        .value_kind:     by_value
      - .offset:         3392
        .size:           1
        .value_kind:     by_value
      - .address_space:  global
        .offset:         3400
        .size:           8
        .value_kind:     global_buffer
      - .address_space:  global
        .offset:         3408
        .size:           8
        .value_kind:     global_buffer
      - .offset:         3416
        .size:           4
        .value_kind:     hidden_block_count_x
      - .offset:         3420
        .size:           4
        .value_kind:     hidden_block_count_y
      - .offset:         3424
        .size:           4
        .value_kind:     hidden_block_count_z
      - .offset:         3428
        .size:           2
        .value_kind:     hidden_group_size_x
      - .offset:         3430
        .size:           2
        .value_kind:     hidden_group_size_y
      - .offset:         3432
        .size:           2
        .value_kind:     hidden_group_size_z
      - .offset:         3434
        .size:           2
        .value_kind:     hidden_remainder_x
      - .offset:         3436
        .size:           2
        .value_kind:     hidden_remainder_y
      - .offset:         3438
        .size:           2
        .value_kind:     hidden_remainder_z
      - .offset:         3456
        .size:           8
        .value_kind:     hidden_global_offset_x
      - .offset:         3464
        .size:           8
        .value_kind:     hidden_global_offset_y
      - .offset:         3472
        .size:           8
        .value_kind:     hidden_global_offset_z
      - .offset:         3480
        .size:           2
        .value_kind:     hidden_grid_dims
    .group_segment_fixed_size: 0
    .kernarg_segment_align: 8
    .kernarg_segment_size: 3672
    .language:       OpenCL C
    .language_version:
      - 2
      - 0
    .max_flat_workgroup_size: 512
    .name:           _ZN2at6native12_GLOBAL__N_125multi_tensor_apply_kernelINS1_32FusedOptimizerTensorListMetadataILi4EEENS1_20FusedAdamMathFunctorIN3c108BFloat16ELi4ELNS0_9ADAM_MODEE0ELb0EEEJPKfdddddbSB_SB_EEEvT_T0_DpT1_
    .private_segment_fixed_size: 0
    .sgpr_count:     41
    .sgpr_spill_count: 0
    .symbol:         _ZN2at6native12_GLOBAL__N_125multi_tensor_apply_kernelINS1_32FusedOptimizerTensorListMetadataILi4EEENS1_20FusedAdamMathFunctorIN3c108BFloat16ELi4ELNS0_9ADAM_MODEE0ELb0EEEJPKfdddddbSB_SB_EEEvT_T0_DpT1_.kd
    .uniform_work_group_size: 1
    .uses_dynamic_stack: false
    .vgpr_count:     71
    .vgpr_spill_count: 0
    .wavefront_size: 64
amdhsa.target:   amdgcn-amd-amdhsa--gfx90a
amdhsa.version:
  - 1
  - 2
...

	.end_amdgpu_metadata
